;; amdgpu-corpus repo=ROCm/rocFFT kind=compiled arch=gfx906 opt=O3
	.text
	.amdgcn_target "amdgcn-amd-amdhsa--gfx906"
	.amdhsa_code_object_version 6
	.protected	bluestein_single_fwd_len143_dim1_sp_op_CI_CI ; -- Begin function bluestein_single_fwd_len143_dim1_sp_op_CI_CI
	.globl	bluestein_single_fwd_len143_dim1_sp_op_CI_CI
	.p2align	8
	.type	bluestein_single_fwd_len143_dim1_sp_op_CI_CI,@function
bluestein_single_fwd_len143_dim1_sp_op_CI_CI: ; @bluestein_single_fwd_len143_dim1_sp_op_CI_CI
; %bb.0:
	v_mul_u32_u24_e32 v1, 0x13b2, v0
	s_load_dwordx4 s[0:3], s[4:5], 0x28
	v_lshrrev_b32_e32 v1, 16, v1
	v_mad_u64_u32 v[44:45], s[6:7], s6, 14, v[1:2]
	v_mov_b32_e32 v45, 0
	s_waitcnt lgkmcnt(0)
	v_cmp_gt_u64_e32 vcc, s[0:1], v[44:45]
	s_and_saveexec_b64 s[0:1], vcc
	s_cbranch_execz .LBB0_15
; %bb.1:
	v_lshrrev_b32_e32 v2, 1, v44
	s_mov_b32 s0, 0x92492493
	v_mul_hi_u32 v2, v2, s0
	s_load_dwordx2 s[6:7], s[4:5], 0x0
	s_load_dwordx2 s[8:9], s[4:5], 0x38
	v_mul_lo_u16_e32 v1, 13, v1
	v_sub_u16_e32 v48, v0, v1
	v_lshrrev_b32_e32 v2, 2, v2
	v_mul_lo_u32 v2, v2, 14
	v_cmp_gt_u16_e32 vcc, 11, v48
	v_lshlrev_b32_e32 v47, 3, v48
	v_sub_u32_e32 v0, v44, v2
	v_mul_u32_u24_e32 v28, 0x8f, v0
	v_lshlrev_b32_e32 v49, 3, v28
	s_and_saveexec_b64 s[10:11], vcc
	s_cbranch_execz .LBB0_3
; %bb.2:
	s_load_dwordx2 s[0:1], s[4:5], 0x18
	s_waitcnt lgkmcnt(0)
	s_load_dwordx4 s[12:15], s[0:1], 0x0
	s_waitcnt lgkmcnt(0)
	v_mad_u64_u32 v[0:1], s[0:1], s14, v44, 0
	v_mad_u64_u32 v[2:3], s[0:1], s12, v48, 0
	;; [unrolled: 1-line block ×4, first 2 shown]
	v_mov_b32_e32 v1, v4
	v_lshlrev_b64 v[0:1], 3, v[0:1]
	v_mov_b32_e32 v3, v5
	v_mov_b32_e32 v6, s3
	v_lshlrev_b64 v[2:3], 3, v[2:3]
	v_add_co_u32_e64 v0, s[0:1], s2, v0
	v_addc_co_u32_e64 v1, s[0:1], v6, v1, s[0:1]
	v_add_co_u32_e64 v0, s[0:1], v0, v2
	v_addc_co_u32_e64 v1, s[0:1], v1, v3, s[0:1]
	s_mul_i32 s0, s13, 0x58
	s_mul_hi_u32 s1, s12, 0x58
	s_add_i32 s2, s1, s0
	s_mul_i32 s3, s12, 0x58
	v_mov_b32_e32 v3, s2
	v_add_co_u32_e64 v2, s[0:1], s3, v0
	v_addc_co_u32_e64 v3, s[0:1], v1, v3, s[0:1]
	v_mov_b32_e32 v5, s2
	v_add_co_u32_e64 v4, s[0:1], s3, v2
	v_addc_co_u32_e64 v5, s[0:1], v3, v5, s[0:1]
	;; [unrolled: 3-line block ×3, first 2 shown]
	global_load_dwordx2 v[8:9], v[0:1], off
	global_load_dwordx2 v[10:11], v[2:3], off
	;; [unrolled: 1-line block ×4, first 2 shown]
	global_load_dwordx2 v[16:17], v47, s[6:7]
	global_load_dwordx2 v[18:19], v47, s[6:7] offset:88
	global_load_dwordx2 v[20:21], v47, s[6:7] offset:176
	;; [unrolled: 1-line block ×3, first 2 shown]
	v_mov_b32_e32 v1, s2
	v_add_co_u32_e64 v0, s[0:1], s3, v6
	v_addc_co_u32_e64 v1, s[0:1], v7, v1, s[0:1]
	global_load_dwordx2 v[2:3], v[0:1], off
	v_mov_b32_e32 v4, s2
	v_add_co_u32_e64 v0, s[0:1], s3, v0
	v_addc_co_u32_e64 v1, s[0:1], v1, v4, s[0:1]
	global_load_dwordx2 v[4:5], v[0:1], off
	;; [unrolled: 4-line block ×4, first 2 shown]
	global_load_dwordx2 v[26:27], v47, s[6:7] offset:352
	global_load_dwordx2 v[29:30], v47, s[6:7] offset:440
	;; [unrolled: 1-line block ×4, first 2 shown]
	v_mov_b32_e32 v35, s2
	v_add_co_u32_e64 v0, s[0:1], s3, v0
	v_addc_co_u32_e64 v1, s[0:1], v1, v35, s[0:1]
	global_load_dwordx2 v[35:36], v[0:1], off
	v_mov_b32_e32 v37, s2
	v_add_co_u32_e64 v0, s[0:1], s3, v0
	v_addc_co_u32_e64 v1, s[0:1], v1, v37, s[0:1]
	global_load_dwordx2 v[37:38], v[0:1], off
	global_load_dwordx2 v[39:40], v47, s[6:7] offset:704
	global_load_dwordx2 v[41:42], v47, s[6:7] offset:792
	v_mov_b32_e32 v43, s2
	v_add_co_u32_e64 v0, s[0:1], s3, v0
	v_addc_co_u32_e64 v1, s[0:1], v1, v43, s[0:1]
	global_load_dwordx2 v[45:46], v[0:1], off
	v_add_co_u32_e64 v0, s[0:1], s3, v0
	v_addc_co_u32_e64 v1, s[0:1], v1, v43, s[0:1]
	global_load_dwordx2 v[50:51], v47, s[6:7] offset:880
	global_load_dwordx2 v[52:53], v[0:1], off
	global_load_dwordx2 v[54:55], v47, s[6:7] offset:968
	v_add_co_u32_e64 v0, s[0:1], s3, v0
	v_addc_co_u32_e64 v1, s[0:1], v1, v43, s[0:1]
	global_load_dwordx2 v[56:57], v[0:1], off
	global_load_dwordx2 v[58:59], v47, s[6:7] offset:1056
	v_lshl_add_u32 v43, v48, 3, v49
	s_waitcnt vmcnt(21)
	v_mul_f32_e32 v0, v9, v17
	v_mul_f32_e32 v1, v8, v17
	v_fmac_f32_e32 v0, v8, v16
	v_fma_f32 v1, v9, v16, -v1
	ds_write_b64 v43, v[0:1]
	s_waitcnt vmcnt(20)
	v_mul_f32_e32 v0, v11, v19
	v_mul_f32_e32 v1, v10, v19
	s_waitcnt vmcnt(19)
	v_mul_f32_e32 v8, v13, v21
	v_mul_f32_e32 v9, v12, v21
	v_fmac_f32_e32 v0, v10, v18
	v_add_u32_e32 v16, v49, v47
	v_fma_f32 v1, v11, v18, -v1
	v_fmac_f32_e32 v8, v12, v20
	v_fma_f32 v9, v13, v20, -v9
	ds_write2_b64 v16, v[0:1], v[8:9] offset0:11 offset1:22
	s_waitcnt vmcnt(18)
	v_mul_f32_e32 v0, v15, v23
	v_mul_f32_e32 v1, v14, v23
	v_fmac_f32_e32 v0, v14, v22
	v_fma_f32 v1, v15, v22, -v1
	s_waitcnt vmcnt(13)
	v_mul_f32_e32 v8, v3, v27
	v_fmac_f32_e32 v8, v2, v26
	v_mul_f32_e32 v2, v2, v27
	v_fma_f32 v9, v3, v26, -v2
	ds_write2_b64 v16, v[0:1], v[8:9] offset0:33 offset1:44
	s_waitcnt vmcnt(12)
	v_mul_f32_e32 v0, v5, v30
	v_mul_f32_e32 v1, v4, v30
	s_waitcnt vmcnt(11)
	v_mul_f32_e32 v2, v7, v32
	v_mul_f32_e32 v3, v6, v32
	v_fmac_f32_e32 v0, v4, v29
	v_fma_f32 v1, v5, v29, -v1
	v_fmac_f32_e32 v2, v6, v31
	v_fma_f32 v3, v7, v31, -v3
	ds_write2_b64 v16, v[0:1], v[2:3] offset0:55 offset1:66
	s_waitcnt vmcnt(10)
	v_mul_f32_e32 v0, v25, v34
	v_mul_f32_e32 v1, v24, v34
	s_waitcnt vmcnt(7)
	v_mul_f32_e32 v2, v36, v40
	v_mul_f32_e32 v3, v35, v40
	v_fmac_f32_e32 v0, v24, v33
	v_fma_f32 v1, v25, v33, -v1
	v_fmac_f32_e32 v2, v35, v39
	;; [unrolled: 11-line block ×4, first 2 shown]
	v_fma_f32 v3, v57, v58, -v3
	ds_write2_b64 v16, v[0:1], v[2:3] offset0:121 offset1:132
.LBB0_3:
	s_or_b64 exec, exec, s[10:11]
	s_load_dwordx2 s[0:1], s[4:5], 0x20
	s_load_dwordx2 s[10:11], s[4:5], 0x8
	v_mov_b32_e32 v4, 0
	v_mov_b32_e32 v5, 0
	s_waitcnt lgkmcnt(0)
	s_barrier
	s_waitcnt lgkmcnt(0)
                                        ; implicit-def: $vgpr10
                                        ; implicit-def: $vgpr12
                                        ; implicit-def: $vgpr24
                                        ; implicit-def: $vgpr0
                                        ; implicit-def: $vgpr22
                                        ; implicit-def: $vgpr18
	s_and_saveexec_b64 s[2:3], vcc
	s_cbranch_execz .LBB0_5
; %bb.4:
	v_lshl_add_u32 v0, v28, 3, v47
	ds_read2_b64 v[4:7], v0 offset1:11
	ds_read2_b64 v[16:19], v0 offset0:22 offset1:33
	ds_read2_b64 v[20:23], v0 offset0:44 offset1:55
	;; [unrolled: 1-line block ×5, first 2 shown]
	ds_read_b64 v[0:1], v0 offset:1056
.LBB0_5:
	s_or_b64 exec, exec, s[2:3]
	s_waitcnt lgkmcnt(0)
	v_sub_f32_e32 v63, v7, v1
	v_mul_f32_e32 v55, 0xbf52af12, v63
	v_add_f32_e32 v29, v0, v6
	v_sub_f32_e32 v69, v6, v0
	v_mov_b32_e32 v31, v55
	v_add_f32_e32 v30, v1, v7
	v_mul_f32_e32 v41, 0xbeedf032, v63
	s_mov_b32 s5, 0x3f116cb1
	v_mul_f32_e32 v59, 0xbf52af12, v69
	v_fmac_f32_e32 v31, 0x3f116cb1, v29
	v_sub_f32_e32 v67, v17, v27
	v_mov_b32_e32 v2, v41
	v_add_f32_e32 v33, v31, v4
	v_fma_f32 v31, v30, s5, -v59
	v_mul_f32_e32 v42, 0xbf52af12, v67
	s_mov_b32 s4, 0x3f62ad3f
	v_mul_f32_e32 v43, 0xbeedf032, v69
	v_fmac_f32_e32 v2, 0x3f62ad3f, v29
	v_add_f32_e32 v34, v31, v5
	v_add_f32_e32 v31, v26, v16
	v_sub_f32_e32 v73, v16, v26
	v_mov_b32_e32 v35, v42
	v_add_f32_e32 v2, v2, v4
	v_fma_f32 v3, v30, s4, -v43
	v_add_f32_e32 v32, v27, v17
	v_mul_f32_e32 v52, 0xbf52af12, v73
	v_fmac_f32_e32 v35, 0x3f116cb1, v31
	v_add_f32_e32 v3, v3, v5
	v_add_f32_e32 v2, v35, v2
	v_fma_f32 v35, v32, s5, -v52
	v_mul_f32_e32 v58, 0xbf6f5d39, v67
	v_add_f32_e32 v3, v35, v3
	v_mov_b32_e32 v35, v58
	s_mov_b32 s12, 0xbeb58ec6
	v_mul_f32_e32 v64, 0xbf6f5d39, v73
	v_fmac_f32_e32 v35, 0xbeb58ec6, v31
	v_sub_f32_e32 v71, v19, v25
	v_add_f32_e32 v35, v35, v33
	v_fma_f32 v33, v32, s12, -v64
	v_mul_f32_e32 v51, 0xbf7e222b, v71
	v_add_f32_e32 v36, v33, v34
	v_add_f32_e32 v33, v24, v18
	v_sub_f32_e32 v77, v18, v24
	v_mov_b32_e32 v37, v51
	v_add_f32_e32 v34, v25, v19
	s_mov_b32 s13, 0x3df6dbef
	v_mul_f32_e32 v54, 0xbf7e222b, v77
	v_fmac_f32_e32 v37, 0x3df6dbef, v33
	v_add_f32_e32 v2, v37, v2
	v_fma_f32 v37, v34, s13, -v54
	v_mul_f32_e32 v62, 0xbe750f2a, v71
	v_add_f32_e32 v3, v37, v3
	v_mov_b32_e32 v37, v62
	s_mov_b32 s14, 0xbf788fa5
	v_mul_f32_e32 v68, 0xbe750f2a, v77
	v_fmac_f32_e32 v37, 0xbf788fa5, v33
	v_sub_f32_e32 v75, v21, v15
	v_add_f32_e32 v38, v37, v35
	v_fma_f32 v35, v34, s14, -v68
	v_mul_f32_e32 v53, 0xbf6f5d39, v75
	v_add_f32_e32 v36, v35, v36
	v_add_f32_e32 v35, v14, v20
	v_sub_f32_e32 v80, v20, v14
	v_mov_b32_e32 v39, v53
	v_add_f32_e32 v37, v15, v21
	v_mul_f32_e32 v57, 0xbf6f5d39, v80
	v_fmac_f32_e32 v39, 0xbeb58ec6, v35
	v_add_f32_e32 v2, v39, v2
	v_fma_f32 v39, v37, s12, -v57
	v_mul_f32_e32 v66, 0x3f29c268, v75
	v_add_f32_e32 v3, v39, v3
	v_mov_b32_e32 v39, v66
	s_mov_b32 s15, 0xbf3f9e67
	v_mul_f32_e32 v72, 0x3f29c268, v80
	v_fmac_f32_e32 v39, 0xbf3f9e67, v35
	v_sub_f32_e32 v79, v23, v13
	v_add_f32_e32 v38, v39, v38
	v_fma_f32 v39, v37, s15, -v72
	v_mul_f32_e32 v56, 0xbf29c268, v79
	v_add_f32_e32 v40, v39, v36
	v_add_f32_e32 v36, v12, v22
	v_sub_f32_e32 v83, v22, v12
	v_mov_b32_e32 v45, v56
	v_add_f32_e32 v39, v13, v23
	v_mul_f32_e32 v61, 0xbf29c268, v83
	v_fmac_f32_e32 v45, 0xbf3f9e67, v36
	v_add_f32_e32 v2, v45, v2
	v_fma_f32 v45, v39, s15, -v61
	v_mul_f32_e32 v70, 0x3f7e222b, v79
	v_add_f32_e32 v3, v45, v3
	v_mov_b32_e32 v45, v70
	v_mul_f32_e32 v76, 0x3f7e222b, v83
	v_fmac_f32_e32 v45, 0x3df6dbef, v36
	v_sub_f32_e32 v81, v9, v11
	v_add_f32_e32 v50, v45, v38
	v_fma_f32 v38, v39, s13, -v76
	v_mul_f32_e32 v60, 0xbe750f2a, v81
	v_add_f32_e32 v84, v38, v40
	v_add_f32_e32 v38, v10, v8
	v_sub_f32_e32 v82, v8, v10
	v_mov_b32_e32 v45, v60
	v_add_f32_e32 v40, v11, v9
	v_mul_f32_e32 v65, 0xbe750f2a, v82
	v_fmac_f32_e32 v45, 0xbf788fa5, v38
	v_add_f32_e32 v45, v45, v2
	v_fma_f32 v2, v40, s14, -v65
	v_mul_f32_e32 v74, 0x3eedf032, v81
	v_add_f32_e32 v46, v2, v3
	v_mul_f32_e32 v78, 0x3eedf032, v82
	v_mov_b32_e32 v2, v74
	v_fmac_f32_e32 v2, 0x3f62ad3f, v38
	v_fma_f32 v3, v40, s4, -v78
	v_add_f32_e32 v2, v2, v50
	v_add_f32_e32 v3, v3, v84
	v_mul_lo_u16_e32 v50, 13, v48
	s_barrier
	s_and_saveexec_b64 s[2:3], vcc
	s_cbranch_execz .LBB0_7
; %bb.6:
	v_mul_f32_e32 v90, 0xbe750f2a, v69
	v_mov_b32_e32 v84, v90
	v_mul_f32_e32 v91, 0x3eedf032, v73
	v_fmac_f32_e32 v84, 0xbf788fa5, v30
	v_mov_b32_e32 v85, v91
	v_add_f32_e32 v84, v84, v5
	v_fmac_f32_e32 v85, 0x3f62ad3f, v32
	v_mul_f32_e32 v92, 0xbf29c268, v77
	v_add_f32_e32 v84, v85, v84
	v_mov_b32_e32 v85, v92
	v_fmac_f32_e32 v85, 0xbf3f9e67, v34
	v_mul_f32_e32 v93, 0x3f52af12, v80
	v_add_f32_e32 v84, v85, v84
	v_mov_b32_e32 v85, v93
	;; [unrolled: 4-line block ×4, first 2 shown]
	v_fmac_f32_e32 v85, 0x3df6dbef, v40
	v_mul_f32_e32 v96, 0xbe750f2a, v63
	v_add_f32_e32 v85, v85, v84
	v_fma_f32 v84, v29, s14, -v96
	v_mul_f32_e32 v97, 0x3eedf032, v67
	v_add_f32_e32 v84, v84, v4
	v_fma_f32 v86, v31, s4, -v97
	;; [unrolled: 3-line block ×6, first 2 shown]
	v_mul_f32_e32 v102, 0xbf29c268, v69
	v_add_f32_e32 v84, v86, v84
	v_mov_b32_e32 v86, v102
	v_mul_f32_e32 v103, 0x3f7e222b, v73
	v_fmac_f32_e32 v86, 0xbf3f9e67, v30
	v_mov_b32_e32 v87, v103
	v_add_f32_e32 v86, v86, v5
	v_fmac_f32_e32 v87, 0x3df6dbef, v32
	v_mul_f32_e32 v104, 0xbf52af12, v77
	v_add_f32_e32 v86, v87, v86
	v_mov_b32_e32 v87, v104
	v_fmac_f32_e32 v87, 0x3f116cb1, v34
	v_mul_f32_e32 v105, 0x3e750f2a, v80
	v_add_f32_e32 v86, v87, v86
	v_mov_b32_e32 v87, v105
	;; [unrolled: 4-line block ×4, first 2 shown]
	v_fmac_f32_e32 v87, 0xbeb58ec6, v40
	v_mul_f32_e32 v108, 0xbf29c268, v63
	v_add_f32_e32 v87, v87, v86
	v_fma_f32 v86, v29, s15, -v108
	v_mul_f32_e32 v109, 0x3f7e222b, v67
	v_add_f32_e32 v86, v86, v4
	v_fma_f32 v88, v31, s13, -v109
	v_mul_f32_e32 v110, 0xbf52af12, v71
	v_add_f32_e32 v86, v88, v86
	v_fma_f32 v88, v33, s5, -v110
	v_mul_f32_e32 v111, 0x3e750f2a, v75
	v_add_f32_e32 v86, v88, v86
	v_fma_f32 v88, v35, s14, -v111
	v_mul_f32_e32 v112, 0x3eedf032, v79
	v_add_f32_e32 v86, v88, v86
	v_fma_f32 v88, v36, s4, -v112
	v_mul_f32_e32 v113, 0xbf6f5d39, v81
	v_add_f32_e32 v86, v88, v86
	v_fma_f32 v88, v38, s12, -v113
	v_mul_f32_e32 v114, 0xbf6f5d39, v69
	v_add_f32_e32 v86, v88, v86
	v_mov_b32_e32 v88, v114
	v_mul_f32_e32 v115, 0x3f29c268, v73
	v_fmac_f32_e32 v88, 0xbeb58ec6, v30
	v_mov_b32_e32 v89, v115
	v_add_f32_e32 v88, v88, v5
	v_fmac_f32_e32 v89, 0xbf3f9e67, v32
	v_mul_f32_e32 v116, 0x3eedf032, v77
	v_add_f32_e32 v88, v89, v88
	v_mov_b32_e32 v89, v116
	v_fmac_f32_e32 v89, 0x3f62ad3f, v34
	v_mul_f32_e32 v117, 0xbf7e222b, v80
	v_add_f32_e32 v88, v89, v88
	v_mov_b32_e32 v89, v117
	v_fmac_f32_e32 v89, 0x3df6dbef, v37
	v_mul_f32_e32 v118, 0x3e750f2a, v83
	v_add_f32_e32 v88, v89, v88
	v_mov_b32_e32 v89, v118
	v_fmac_f32_e32 v89, 0xbf788fa5, v39
	v_mul_f32_e32 v119, 0xbf6f5d39, v63
	v_add_f32_e32 v88, v89, v88
	v_fma_f32 v89, v29, s12, -v119
	v_mul_f32_e32 v120, 0x3f29c268, v67
	v_add_f32_e32 v89, v89, v4
	v_fma_f32 v121, v31, s15, -v120
	v_add_f32_e32 v89, v121, v89
	v_mul_f32_e32 v121, 0x3eedf032, v71
	v_fma_f32 v122, v33, s4, -v121
	v_add_f32_e32 v89, v122, v89
	v_mul_f32_e32 v122, 0xbf7e222b, v75
	;; [unrolled: 3-line block ×3, first 2 shown]
	v_fma_f32 v124, v36, s14, -v123
	v_mul_f32_e32 v125, 0x3f52af12, v82
	v_add_f32_e32 v124, v124, v89
	v_mov_b32_e32 v89, v125
	v_fmac_f32_e32 v89, 0x3f116cb1, v40
	v_mul_f32_e32 v126, 0x3f52af12, v81
	v_add_f32_e32 v89, v89, v88
	v_fma_f32 v88, v38, s5, -v126
	v_mul_f32_e32 v69, 0xbf7e222b, v69
	v_add_f32_e32 v88, v88, v124
	v_mov_b32_e32 v124, v69
	v_mul_f32_e32 v73, 0xbe750f2a, v73
	v_fmac_f32_e32 v124, 0x3df6dbef, v30
	v_mov_b32_e32 v127, v73
	v_add_f32_e32 v124, v124, v5
	v_fmac_f32_e32 v127, 0xbf788fa5, v32
	v_mul_f32_e32 v77, 0x3f6f5d39, v77
	v_add_f32_e32 v124, v127, v124
	v_mov_b32_e32 v127, v77
	v_fmac_f32_e32 v127, 0xbeb58ec6, v34
	v_add_f32_e32 v124, v127, v124
	v_mul_f32_e32 v127, 0x3eedf032, v80
	v_mov_b32_e32 v80, v127
	v_fmac_f32_e32 v80, 0x3f62ad3f, v37
	v_mul_f32_e32 v83, 0xbf52af12, v83
	v_add_f32_e32 v80, v80, v124
	v_mov_b32_e32 v124, v83
	v_fmac_f32_e32 v124, 0x3f116cb1, v39
	v_mul_f32_e32 v63, 0xbf7e222b, v63
	v_add_f32_e32 v80, v124, v80
	v_fma_f32 v124, v29, s13, -v63
	v_mul_f32_e32 v67, 0xbe750f2a, v67
	v_add_f32_e32 v124, v124, v4
	v_fma_f32 v128, v31, s14, -v67
	;; [unrolled: 3-line block ×4, first 2 shown]
	v_add_f32_e32 v124, v128, v124
	v_mul_f32_e32 v128, 0xbf52af12, v79
	v_fma_f32 v79, v36, s5, -v128
	v_mul_f32_e32 v82, 0xbf29c268, v82
	v_add_f32_e32 v79, v79, v124
	v_mov_b32_e32 v124, v82
	v_fmac_f32_e32 v124, 0xbf3f9e67, v40
	v_mul_f32_e32 v81, 0xbf29c268, v81
	v_add_f32_e32 v80, v124, v80
	v_fma_f32 v124, v38, s15, -v81
	v_add_f32_e32 v79, v124, v79
	v_mul_f32_e32 v124, 0x3f116cb1, v30
	v_add_f32_e32 v59, v59, v124
	v_mul_f32_e32 v124, 0xbeb58ec6, v32
	v_add_f32_e32 v64, v64, v124
	v_add_f32_e32 v59, v59, v5
	;; [unrolled: 1-line block ×3, first 2 shown]
	v_mul_f32_e32 v64, 0xbf788fa5, v34
	v_add_f32_e32 v64, v68, v64
	v_mul_f32_e32 v68, 0x3f116cb1, v29
	v_sub_f32_e32 v55, v68, v55
	v_mul_f32_e32 v68, 0xbeb58ec6, v31
	v_sub_f32_e32 v58, v68, v58
	v_add_f32_e32 v55, v55, v4
	v_add_f32_e32 v6, v6, v4
	v_add_f32_e32 v55, v58, v55
	v_mul_f32_e32 v58, 0xbf788fa5, v33
	v_add_f32_e32 v7, v7, v5
	v_add_f32_e32 v6, v16, v6
	v_sub_f32_e32 v58, v58, v62
	v_add_f32_e32 v7, v17, v7
	v_add_f32_e32 v6, v18, v6
	v_add_f32_e32 v55, v58, v55
	v_mul_f32_e32 v58, 0xbf3f9e67, v35
	v_add_f32_e32 v7, v19, v7
	v_add_f32_e32 v6, v20, v6
	;; [unrolled: 7-line block ×5, first 2 shown]
	v_add_f32_e32 v43, v43, v55
	v_mul_f32_e32 v55, 0x3f116cb1, v32
	v_add_f32_e32 v7, v25, v7
	v_add_f32_e32 v6, v26, v6
	;; [unrolled: 1-line block ×6, first 2 shown]
	v_fma_f32 v6, v30, s14, -v90
	v_fma_f32 v8, v30, s15, -v102
	v_fma_f32 v10, v30, s12, -v114
	v_add_f32_e32 v43, v52, v43
	v_mul_f32_e32 v52, 0x3df6dbef, v34
	v_add_f32_e32 v1, v1, v7
	v_add_f32_e32 v6, v6, v5
	v_fma_f32 v7, v32, s4, -v91
	v_add_f32_e32 v8, v8, v5
	v_fma_f32 v9, v32, s13, -v103
	v_add_f32_e32 v10, v10, v5
	v_fma_f32 v11, v32, s15, -v115
	v_add_f32_e32 v52, v54, v52
	v_add_f32_e32 v6, v7, v6
	v_fma_f32 v7, v34, s15, -v92
	v_add_f32_e32 v8, v9, v8
	v_fma_f32 v9, v34, s5, -v104
	;; [unrolled: 2-line block ×3, first 2 shown]
	v_mul_f32_e32 v55, 0x3f62ad3f, v29
	v_add_f32_e32 v43, v52, v43
	v_mul_f32_e32 v52, 0xbeb58ec6, v37
	v_add_f32_e32 v6, v7, v6
	v_fma_f32 v7, v37, s5, -v93
	v_add_f32_e32 v8, v9, v8
	v_fma_f32 v9, v37, s14, -v105
	;; [unrolled: 2-line block ×3, first 2 shown]
	v_mul_f32_e32 v54, 0x3f116cb1, v31
	v_add_f32_e32 v52, v57, v52
	v_sub_f32_e32 v41, v55, v41
	v_add_f32_e32 v6, v7, v6
	v_fma_f32 v7, v39, s12, -v94
	v_add_f32_e32 v8, v9, v8
	v_fma_f32 v9, v39, s4, -v106
	v_add_f32_e32 v10, v11, v10
	v_fma_f32 v11, v39, s14, -v118
	v_fma_f32 v12, v30, s13, -v69
	v_add_f32_e32 v59, v64, v59
	v_mul_f32_e32 v64, 0xbf3f9e67, v37
	v_mul_f32_e32 v57, 0x3df6dbef, v33
	v_add_f32_e32 v43, v52, v43
	v_mul_f32_e32 v52, 0xbf3f9e67, v39
	v_add_f32_e32 v41, v41, v4
	v_sub_f32_e32 v42, v54, v42
	v_add_f32_e32 v6, v7, v6
	v_fma_f32 v7, v40, s13, -v95
	v_fmac_f32_e32 v96, 0xbf788fa5, v29
	v_add_f32_e32 v8, v9, v8
	v_fma_f32 v9, v40, s12, -v107
	v_fmac_f32_e32 v108, 0xbf3f9e67, v29
	;; [unrolled: 3-line block ×4, first 2 shown]
	v_add_f32_e32 v64, v72, v64
	v_add_f32_e32 v52, v61, v52
	v_mul_f32_e32 v61, 0xbeb58ec6, v35
	v_add_f32_e32 v41, v42, v41
	v_sub_f32_e32 v42, v57, v51
	v_add_f32_e32 v7, v7, v6
	v_add_f32_e32 v6, v96, v4
	v_fmac_f32_e32 v97, 0x3f62ad3f, v31
	v_add_f32_e32 v9, v9, v8
	v_add_f32_e32 v8, v108, v4
	v_fmac_f32_e32 v109, 0x3df6dbef, v31
	v_add_f32_e32 v11, v11, v10
	v_add_f32_e32 v10, v119, v4
	v_fmac_f32_e32 v120, 0xbf3f9e67, v31
	v_add_f32_e32 v5, v12, v5
	v_fma_f32 v12, v34, s12, -v77
	v_add_f32_e32 v4, v63, v4
	v_fmac_f32_e32 v67, 0xbf788fa5, v31
	v_add_f32_e32 v59, v64, v59
	v_mul_f32_e32 v64, 0x3df6dbef, v39
	v_mul_f32_e32 v62, 0xbf3f9e67, v36
	v_add_f32_e32 v41, v42, v41
	v_sub_f32_e32 v42, v61, v53
	v_add_f32_e32 v6, v97, v6
	v_fmac_f32_e32 v98, 0xbf3f9e67, v33
	v_add_f32_e32 v8, v109, v8
	v_fmac_f32_e32 v110, 0x3f116cb1, v33
	;; [unrolled: 2-line block ×3, first 2 shown]
	v_add_f32_e32 v5, v12, v5
	v_fma_f32 v12, v37, s4, -v127
	v_add_f32_e32 v4, v67, v4
	v_fmac_f32_e32 v71, 0xbeb58ec6, v33
	v_add_f32_e32 v64, v76, v64
	v_add_f32_e32 v43, v52, v43
	v_mul_f32_e32 v52, 0xbf788fa5, v40
	v_mul_f32_e32 v55, 0xbf788fa5, v38
	v_add_f32_e32 v41, v42, v41
	v_sub_f32_e32 v42, v62, v56
	v_add_f32_e32 v6, v98, v6
	v_fmac_f32_e32 v99, 0x3f116cb1, v35
	v_add_f32_e32 v8, v110, v8
	v_fmac_f32_e32 v111, 0xbf788fa5, v35
	;; [unrolled: 2-line block ×3, first 2 shown]
	v_add_f32_e32 v5, v12, v5
	v_fma_f32 v12, v39, s5, -v83
	v_add_f32_e32 v4, v71, v4
	v_fmac_f32_e32 v75, 0x3f62ad3f, v35
	v_add_f32_e32 v59, v64, v59
	v_mul_f32_e32 v64, 0x3f62ad3f, v40
	v_add_f32_e32 v52, v65, v52
	v_add_f32_e32 v41, v42, v41
	v_sub_f32_e32 v42, v55, v60
	v_add_f32_e32 v6, v99, v6
	v_fmac_f32_e32 v100, 0xbeb58ec6, v36
	v_add_f32_e32 v8, v111, v8
	v_fmac_f32_e32 v112, 0x3f62ad3f, v36
	v_add_f32_e32 v10, v122, v10
	v_fmac_f32_e32 v123, 0xbf788fa5, v36
	v_add_f32_e32 v5, v12, v5
	v_fma_f32 v12, v40, s15, -v82
	v_add_f32_e32 v4, v75, v4
	v_fmac_f32_e32 v128, 0x3f116cb1, v36
	v_add_f32_e32 v64, v78, v64
	v_add_f32_e32 v43, v52, v43
	;; [unrolled: 1-line block ×4, first 2 shown]
	v_fmac_f32_e32 v101, 0x3df6dbef, v38
	v_add_f32_e32 v8, v112, v8
	v_fmac_f32_e32 v113, 0xbeb58ec6, v38
	v_add_f32_e32 v10, v123, v10
	;; [unrolled: 2-line block ×3, first 2 shown]
	v_add_f32_e32 v4, v128, v4
	v_fmac_f32_e32 v81, 0xbf3f9e67, v38
	v_add_lshl_u32 v12, v28, v50, 3
	v_add_f32_e32 v59, v64, v59
	v_add_f32_e32 v6, v101, v6
	;; [unrolled: 1-line block ×5, first 2 shown]
	ds_write2_b64 v12, v[0:1], v[42:43] offset1:1
	ds_write2_b64 v12, v[58:59], v[79:80] offset0:2 offset1:3
	ds_write2_b64 v12, v[88:89], v[86:87] offset0:4 offset1:5
	;; [unrolled: 1-line block ×5, first 2 shown]
	ds_write_b64 v12, v[45:46] offset:96
.LBB0_7:
	s_or_b64 exec, exec, s[2:3]
	v_mul_u32_u24_e32 v0, 10, v48
	v_lshlrev_b32_e32 v0, 3, v0
	s_load_dwordx4 s[0:3], s[0:1], 0x0
	s_waitcnt lgkmcnt(0)
	s_barrier
	global_load_dwordx4 v[16:19], v0, s[10:11]
	global_load_dwordx4 v[12:15], v0, s[10:11] offset:16
	global_load_dwordx4 v[8:11], v0, s[10:11] offset:32
	global_load_dwordx4 v[4:7], v0, s[10:11] offset:48
	global_load_dwordx4 v[20:23], v0, s[10:11] offset:64
	v_add_lshl_u32 v52, v28, v48, 3
	ds_read2_b64 v[26:29], v52 offset1:13
	ds_read2_b64 v[30:33], v52 offset0:26 offset1:39
	ds_read2_b64 v[34:37], v52 offset0:52 offset1:65
	;; [unrolled: 1-line block ×4, first 2 shown]
	ds_read_b64 v[0:1], v52 offset:1040
	s_mov_b32 s4, 0x3f575c64
	s_mov_b32 s5, 0x3ed4b147
	;; [unrolled: 1-line block ×5, first 2 shown]
	s_waitcnt vmcnt(4) lgkmcnt(5)
	v_mul_f32_e32 v24, v29, v17
	v_mul_f32_e32 v25, v28, v17
	s_waitcnt lgkmcnt(4)
	v_mul_f32_e32 v42, v31, v19
	v_mul_f32_e32 v43, v30, v19
	s_waitcnt vmcnt(2) lgkmcnt(3)
	v_mul_f32_e32 v60, v37, v9
	s_waitcnt vmcnt(0) lgkmcnt(0)
	v_mul_f32_e32 v70, v1, v23
	v_mul_f32_e32 v71, v0, v23
	v_fma_f32 v24, v28, v16, -v24
	v_fmac_f32_e32 v25, v29, v16
	v_mul_f32_e32 v51, v33, v13
	v_mul_f32_e32 v57, v32, v13
	v_mul_f32_e32 v61, v36, v9
	v_mul_f32_e32 v63, v38, v11
	v_fma_f32 v28, v30, v18, -v42
	v_fmac_f32_e32 v43, v31, v18
	v_fma_f32 v31, v36, v8, -v60
	v_fma_f32 v0, v0, v22, -v70
	v_fmac_f32_e32 v71, v1, v22
	v_add_f32_e32 v1, v26, v24
	v_add_f32_e32 v36, v27, v25
	v_mul_f32_e32 v58, v35, v15
	v_mul_f32_e32 v59, v34, v15
	v_mul_f32_e32 v62, v39, v11
	v_fma_f32 v29, v32, v12, -v51
	v_fmac_f32_e32 v57, v33, v12
	v_fmac_f32_e32 v61, v37, v8
	;; [unrolled: 1-line block ×3, first 2 shown]
	v_add_f32_e32 v37, v24, v0
	v_sub_f32_e32 v39, v24, v0
	v_add_f32_e32 v1, v1, v28
	v_add_f32_e32 v24, v36, v43
	v_fma_f32 v30, v34, v14, -v58
	v_fmac_f32_e32 v59, v35, v14
	v_add_f32_e32 v1, v1, v29
	v_add_f32_e32 v24, v24, v57
	;; [unrolled: 1-line block ×4, first 2 shown]
	v_mul_f32_e32 v64, v41, v5
	v_mul_f32_e32 v65, v40, v5
	v_fma_f32 v32, v38, v10, -v62
	v_add_f32_e32 v1, v1, v31
	v_add_f32_e32 v24, v24, v61
	v_mul_f32_e32 v66, v54, v7
	v_mul_f32_e32 v67, v53, v7
	v_fma_f32 v33, v40, v4, -v64
	v_fmac_f32_e32 v65, v41, v4
	v_sub_f32_e32 v40, v25, v71
	v_add_f32_e32 v1, v1, v32
	v_add_f32_e32 v24, v24, v63
	v_mul_f32_e32 v68, v56, v21
	v_mul_f32_e32 v69, v55, v21
	v_fma_f32 v34, v53, v6, -v66
	v_fmac_f32_e32 v67, v54, v6
	v_add_f32_e32 v38, v25, v71
	v_mul_f32_e32 v25, 0xbf0a6770, v40
	v_add_f32_e32 v1, v1, v33
	v_add_f32_e32 v24, v24, v65
	v_fma_f32 v35, v55, v20, -v68
	v_fmac_f32_e32 v69, v56, v20
	v_fma_f32 v41, v37, s4, -v25
	v_fmac_f32_e32 v25, 0x3f575c64, v37
	v_add_f32_e32 v1, v1, v34
	v_add_f32_e32 v24, v24, v67
	v_mul_f32_e32 v36, 0xbf0a6770, v39
	v_add_f32_e32 v51, v26, v25
	v_add_f32_e32 v1, v1, v35
	;; [unrolled: 1-line block ×3, first 2 shown]
	v_mul_f32_e32 v53, 0xbf68dda4, v39
	v_mul_f32_e32 v58, 0xbf7d64f0, v39
	;; [unrolled: 1-line block ×4, first 2 shown]
	v_mov_b32_e32 v42, v36
	v_add_f32_e32 v24, v1, v0
	v_add_f32_e32 v25, v25, v71
	v_mul_f32_e32 v0, 0xbf68dda4, v40
	v_mov_b32_e32 v54, v53
	v_mul_f32_e32 v55, 0xbf7d64f0, v40
	v_mov_b32_e32 v60, v58
	;; [unrolled: 2-line block ×4, first 2 shown]
	v_fma_f32 v36, v38, s4, -v36
	v_fmac_f32_e32 v42, 0x3f575c64, v38
	v_fma_f32 v1, v37, s5, -v0
	v_fmac_f32_e32 v54, 0x3ed4b147, v38
	v_fmac_f32_e32 v0, 0x3ed4b147, v37
	v_fma_f32 v53, v38, s5, -v53
	v_fma_f32 v56, v37, s10, -v55
	v_fmac_f32_e32 v60, 0xbe11bafb, v38
	v_fmac_f32_e32 v55, 0xbe11bafb, v37
	v_fma_f32 v58, v38, s10, -v58
	;; [unrolled: 4-line block ×4, first 2 shown]
	v_add_f32_e32 v36, v27, v36
	v_add_f32_e32 v42, v27, v42
	;; [unrolled: 1-line block ×11, first 2 shown]
	v_sub_f32_e32 v28, v28, v35
	v_sub_f32_e32 v35, v43, v69
	v_mul_f32_e32 v39, 0xbf68dda4, v35
	v_add_f32_e32 v41, v26, v41
	v_add_f32_e32 v1, v26, v1
	;; [unrolled: 1-line block ×9, first 2 shown]
	v_fma_f32 v40, v37, s5, -v39
	v_add_f32_e32 v38, v43, v69
	v_add_f32_e32 v40, v40, v41
	v_mul_f32_e32 v41, 0xbf68dda4, v28
	v_mov_b32_e32 v43, v41
	v_fma_f32 v41, v38, s5, -v41
	v_fmac_f32_e32 v43, 0x3ed4b147, v38
	v_add_f32_e32 v36, v41, v36
	v_mul_f32_e32 v41, 0xbf4178ce, v35
	v_add_f32_e32 v42, v43, v42
	v_fma_f32 v43, v37, s11, -v41
	v_fmac_f32_e32 v39, 0x3ed4b147, v37
	v_add_f32_e32 v1, v43, v1
	v_mul_f32_e32 v43, 0xbf4178ce, v28
	v_add_f32_e32 v39, v39, v51
	v_mov_b32_e32 v51, v43
	v_fmac_f32_e32 v41, 0xbf27a4f4, v37
	v_fmac_f32_e32 v51, 0xbf27a4f4, v38
	v_add_f32_e32 v0, v41, v0
	v_fma_f32 v41, v38, s11, -v43
	v_mul_f32_e32 v43, 0x3e903f40, v35
	v_add_f32_e32 v51, v51, v54
	v_add_f32_e32 v41, v41, v53
	v_fma_f32 v53, v37, s12, -v43
	v_mul_f32_e32 v54, 0x3e903f40, v28
	v_add_f32_e32 v53, v53, v56
	v_mov_b32_e32 v56, v54
	v_fmac_f32_e32 v43, 0xbf75a155, v37
	v_fmac_f32_e32 v56, 0xbf75a155, v38
	v_add_f32_e32 v43, v43, v55
	v_fma_f32 v54, v38, s12, -v54
	v_mul_f32_e32 v55, 0x3f7d64f0, v35
	v_add_f32_e32 v56, v56, v60
	v_add_f32_e32 v54, v54, v58
	v_fma_f32 v58, v37, s10, -v55
	v_mul_f32_e32 v60, 0x3f7d64f0, v28
	v_add_f32_e32 v58, v58, v64
	v_mov_b32_e32 v64, v60
	v_fma_f32 v60, v38, s10, -v60
	v_mul_f32_e32 v28, 0x3f0a6770, v28
	v_add_f32_e32 v60, v60, v66
	v_mov_b32_e32 v66, v28
	v_fma_f32 v28, v38, s4, -v28
	v_fmac_f32_e32 v55, 0xbe11bafb, v37
	v_mul_f32_e32 v35, 0x3f0a6770, v35
	v_add_f32_e32 v27, v28, v27
	v_add_f32_e32 v28, v29, v34
	v_sub_f32_e32 v29, v29, v34
	v_sub_f32_e32 v34, v57, v67
	v_add_f32_e32 v55, v55, v62
	v_fma_f32 v62, v37, s4, -v35
	v_fmac_f32_e32 v35, 0x3f575c64, v37
	v_mul_f32_e32 v37, 0xbf7d64f0, v34
	v_fmac_f32_e32 v64, 0xbe11bafb, v38
	v_fmac_f32_e32 v66, 0x3f575c64, v38
	v_fma_f32 v38, v28, s10, -v37
	v_add_f32_e32 v26, v35, v26
	v_add_f32_e32 v35, v57, v67
	;; [unrolled: 1-line block ×3, first 2 shown]
	v_mul_f32_e32 v40, 0xbf7d64f0, v29
	v_fmac_f32_e32 v37, 0xbe11bafb, v28
	v_add_f32_e32 v37, v37, v39
	v_fma_f32 v39, v35, s10, -v40
	v_add_f32_e32 v36, v39, v36
	v_mul_f32_e32 v39, 0x3e903f40, v34
	v_mov_b32_e32 v57, v40
	v_fma_f32 v40, v28, s12, -v39
	v_fmac_f32_e32 v57, 0xbe11bafb, v35
	v_add_f32_e32 v1, v40, v1
	v_mul_f32_e32 v40, 0x3e903f40, v29
	v_fmac_f32_e32 v39, 0xbf75a155, v28
	v_add_f32_e32 v42, v57, v42
	v_mov_b32_e32 v57, v40
	v_add_f32_e32 v0, v39, v0
	v_fma_f32 v39, v35, s12, -v40
	v_mul_f32_e32 v40, 0x3f68dda4, v34
	v_add_f32_e32 v39, v39, v41
	v_fma_f32 v41, v28, s5, -v40
	v_fmac_f32_e32 v57, 0xbf75a155, v35
	v_add_f32_e32 v41, v41, v53
	v_mul_f32_e32 v53, 0x3f68dda4, v29
	v_add_f32_e32 v51, v57, v51
	v_mov_b32_e32 v57, v53
	v_fmac_f32_e32 v40, 0x3ed4b147, v28
	v_fmac_f32_e32 v57, 0x3ed4b147, v35
	v_add_f32_e32 v40, v40, v43
	v_fma_f32 v43, v35, s5, -v53
	v_mul_f32_e32 v53, 0xbf0a6770, v34
	v_add_f32_e32 v56, v57, v56
	v_add_f32_e32 v43, v43, v54
	v_fma_f32 v54, v28, s4, -v53
	v_mul_f32_e32 v57, 0xbf0a6770, v29
	v_fmac_f32_e32 v53, 0x3f575c64, v28
	v_mul_f32_e32 v34, 0xbf4178ce, v34
	v_mul_f32_e32 v29, 0xbf4178ce, v29
	v_add_f32_e32 v54, v54, v58
	v_mov_b32_e32 v58, v57
	v_add_f32_e32 v53, v53, v55
	v_fma_f32 v55, v35, s4, -v57
	v_fma_f32 v57, v28, s11, -v34
	v_fmac_f32_e32 v34, 0xbf27a4f4, v28
	v_fma_f32 v28, v35, s11, -v29
	v_add_f32_e32 v27, v28, v27
	v_add_f32_e32 v28, v30, v33
	v_sub_f32_e32 v30, v30, v33
	v_sub_f32_e32 v33, v59, v65
	v_add_f32_e32 v55, v55, v60
	v_mov_b32_e32 v60, v29
	v_add_f32_e32 v26, v34, v26
	v_mul_f32_e32 v34, 0xbf4178ce, v33
	v_fmac_f32_e32 v58, 0x3f575c64, v35
	v_fmac_f32_e32 v60, 0xbf27a4f4, v35
	v_fma_f32 v35, v28, s11, -v34
	v_add_f32_e32 v29, v59, v65
	v_add_f32_e32 v35, v35, v38
	v_mul_f32_e32 v38, 0xbf4178ce, v30
	v_fmac_f32_e32 v34, 0xbf27a4f4, v28
	v_add_f32_e32 v34, v34, v37
	v_fma_f32 v37, v29, s11, -v38
	v_add_f32_e32 v36, v37, v36
	v_mul_f32_e32 v37, 0x3f7d64f0, v33
	v_mov_b32_e32 v59, v38
	v_fma_f32 v38, v28, s10, -v37
	v_add_f32_e32 v38, v38, v1
	v_mul_f32_e32 v1, 0x3f7d64f0, v30
	v_fmac_f32_e32 v37, 0xbe11bafb, v28
	v_add_f32_e32 v37, v37, v0
	v_fma_f32 v0, v29, s10, -v1
	v_fmac_f32_e32 v59, 0xbf27a4f4, v29
	v_add_f32_e32 v39, v0, v39
	v_mul_f32_e32 v0, 0xbf0a6770, v33
	v_add_f32_e32 v42, v59, v42
	v_mov_b32_e32 v59, v1
	v_fma_f32 v1, v28, s4, -v0
	v_add_f32_e32 v41, v1, v41
	v_mul_f32_e32 v1, 0xbf0a6770, v30
	v_fmac_f32_e32 v0, 0x3f575c64, v28
	v_add_f32_e32 v40, v0, v40
	v_fma_f32 v0, v29, s4, -v1
	v_fmac_f32_e32 v59, 0xbe11bafb, v29
	v_add_f32_e32 v43, v0, v43
	v_mul_f32_e32 v0, 0xbe903f40, v33
	v_add_f32_e32 v51, v59, v51
	v_mov_b32_e32 v59, v1
	v_fma_f32 v1, v28, s12, -v0
	v_add_f32_e32 v54, v1, v54
	v_mul_f32_e32 v1, 0xbe903f40, v30
	v_fmac_f32_e32 v0, 0xbf75a155, v28
	v_add_f32_e32 v53, v0, v53
	v_fma_f32 v0, v29, s12, -v1
	v_add_f32_e32 v62, v62, v70
	v_fmac_f32_e32 v59, 0x3f575c64, v29
	v_add_f32_e32 v55, v0, v55
	v_mul_f32_e32 v0, 0x3f68dda4, v33
	v_add_f32_e32 v57, v57, v62
	v_add_f32_e32 v56, v59, v56
	v_mov_b32_e32 v59, v1
	v_fma_f32 v1, v28, s5, -v0
	v_add_f32_e32 v57, v1, v57
	v_mul_f32_e32 v1, 0x3f68dda4, v30
	v_add_f32_e32 v64, v64, v68
	v_add_f32_e32 v66, v66, v71
	v_mov_b32_e32 v30, v1
	v_add_f32_e32 v58, v58, v64
	v_add_f32_e32 v60, v60, v66
	v_fmac_f32_e32 v59, 0xbf75a155, v29
	v_fmac_f32_e32 v30, 0x3ed4b147, v29
	;; [unrolled: 1-line block ×3, first 2 shown]
	v_add_f32_e32 v58, v59, v58
	v_add_f32_e32 v59, v30, v60
	;; [unrolled: 1-line block ×3, first 2 shown]
	v_fma_f32 v0, v29, s5, -v1
	v_add_f32_e32 v65, v61, v63
	v_sub_f32_e32 v61, v61, v63
	v_add_f32_e32 v62, v0, v27
	v_add_f32_e32 v64, v31, v32
	v_sub_f32_e32 v66, v31, v32
	v_mul_f32_e32 v0, 0xbe903f40, v61
	v_mul_f32_e32 v30, 0x3f0a6770, v61
	v_fma_f32 v1, v64, s12, -v0
	v_fmac_f32_e32 v0, 0xbf75a155, v64
	v_fma_f32 v28, v64, s4, -v30
	v_mul_f32_e32 v31, 0x3f0a6770, v66
	v_fmac_f32_e32 v30, 0x3f575c64, v64
	v_add_f32_e32 v26, v1, v35
	v_mul_f32_e32 v1, 0xbe903f40, v66
	v_add_f32_e32 v0, v0, v34
	v_add_f32_e32 v34, v30, v37
	v_fma_f32 v30, v65, s4, -v31
	v_mul_f32_e32 v32, 0xbf4178ce, v61
	v_mov_b32_e32 v27, v1
	v_fma_f32 v1, v65, s12, -v1
	v_add_f32_e32 v28, v28, v38
	v_add_f32_e32 v35, v30, v39
	v_fma_f32 v30, v64, s11, -v32
	v_mul_f32_e32 v38, 0x3f68dda4, v61
	v_fmac_f32_e32 v27, 0xbf75a155, v65
	v_add_f32_e32 v1, v1, v36
	v_add_f32_e32 v30, v30, v41
	v_mul_f32_e32 v33, 0xbf4178ce, v66
	v_fmac_f32_e32 v32, 0xbf27a4f4, v64
	v_fma_f32 v36, v64, s5, -v38
	v_mul_f32_e32 v39, 0x3f68dda4, v66
	v_fmac_f32_e32 v38, 0x3ed4b147, v64
	v_mul_f32_e32 v41, 0xbf7d64f0, v66
	v_add_f32_e32 v27, v27, v42
	v_mov_b32_e32 v29, v31
	v_mov_b32_e32 v31, v33
	v_add_f32_e32 v32, v32, v40
	v_fma_f32 v33, v65, s11, -v33
	v_mov_b32_e32 v37, v39
	v_add_f32_e32 v42, v38, v53
	v_fma_f32 v38, v65, s5, -v39
	v_mul_f32_e32 v40, 0xbf7d64f0, v61
	v_mov_b32_e32 v39, v41
	v_fmac_f32_e32 v29, 0x3f575c64, v65
	v_fmac_f32_e32 v31, 0xbf27a4f4, v65
	v_add_f32_e32 v33, v33, v43
	v_fmac_f32_e32 v37, 0x3ed4b147, v65
	v_add_f32_e32 v43, v38, v55
	v_fma_f32 v38, v64, s10, -v40
	v_fmac_f32_e32 v39, 0xbe11bafb, v65
	v_fmac_f32_e32 v40, 0xbe11bafb, v64
	v_fma_f32 v41, v65, s10, -v41
	v_add_f32_e32 v29, v29, v51
	v_add_f32_e32 v31, v31, v56
	;; [unrolled: 1-line block ×8, first 2 shown]
	v_lshl_add_u32 v51, v48, 3, v49
	ds_write2_b64 v51, v[24:25], v[26:27] offset1:13
	ds_write2_b64 v51, v[28:29], v[30:31] offset0:26 offset1:39
	ds_write2_b64 v51, v[36:37], v[38:39] offset0:52 offset1:65
	;; [unrolled: 1-line block ×4, first 2 shown]
	ds_write_b64 v51, v[0:1] offset:1040
	s_waitcnt lgkmcnt(0)
	s_barrier
	s_and_saveexec_b64 s[4:5], vcc
	s_cbranch_execz .LBB0_9
; %bb.8:
	global_load_dwordx2 v[77:78], v47, s[6:7] offset:1144
	s_add_u32 s10, s6, 0x478
	s_addc_u32 s11, s7, 0
	global_load_dwordx2 v[79:80], v47, s[10:11] offset:88
	global_load_dwordx2 v[81:82], v47, s[10:11] offset:176
	;; [unrolled: 1-line block ×12, first 2 shown]
	ds_read2_b64 v[53:56], v51 offset1:11
	ds_read2_b64 v[57:60], v51 offset0:22 offset1:33
	ds_read2_b64 v[61:64], v51 offset0:44 offset1:55
	;; [unrolled: 1-line block ×5, first 2 shown]
	ds_read_b64 v[103:104], v51 offset:1056
	s_waitcnt vmcnt(9) lgkmcnt(5)
	v_mul_f32_e32 v107, v60, v84
	s_waitcnt vmcnt(8) lgkmcnt(4)
	v_mul_f32_e32 v108, v62, v86
	s_waitcnt vmcnt(7)
	v_mul_f32_e32 v109, v64, v88
	s_waitcnt vmcnt(6) lgkmcnt(3)
	v_mul_f32_e32 v110, v66, v90
	s_waitcnt vmcnt(5)
	v_mul_f32_e32 v111, v68, v92
	s_waitcnt vmcnt(4) lgkmcnt(2)
	v_mul_f32_e32 v112, v70, v94
	v_mul_f32_e32 v105, v54, v78
	;; [unrolled: 1-line block ×3, first 2 shown]
	v_fma_f32 v105, v53, v77, -v105
	v_fmac_f32_e32 v106, v54, v77
	v_mul_f32_e32 v53, v56, v80
	v_mul_f32_e32 v54, v55, v80
	;; [unrolled: 1-line block ×10, first 2 shown]
	s_waitcnt vmcnt(3)
	v_mul_f32_e32 v113, v72, v96
	v_mul_f32_e32 v92, v71, v96
	s_waitcnt vmcnt(2) lgkmcnt(1)
	v_mul_f32_e32 v114, v74, v98
	v_mul_f32_e32 v94, v73, v98
	s_waitcnt vmcnt(1)
	v_mul_f32_e32 v115, v76, v100
	v_mul_f32_e32 v96, v75, v100
	s_waitcnt vmcnt(0) lgkmcnt(0)
	v_mul_f32_e32 v100, v104, v102
	v_mul_f32_e32 v98, v103, v102
	v_fma_f32 v53, v55, v79, -v53
	v_fmac_f32_e32 v54, v56, v79
	v_fma_f32 v77, v57, v81, -v77
	v_fmac_f32_e32 v78, v58, v81
	;; [unrolled: 2-line block ×12, first 2 shown]
	ds_write2_b64 v51, v[105:106], v[53:54] offset1:11
	ds_write2_b64 v51, v[77:78], v[79:80] offset0:22 offset1:33
	ds_write2_b64 v51, v[81:82], v[83:84] offset0:44 offset1:55
	;; [unrolled: 1-line block ×5, first 2 shown]
	ds_write_b64 v51, v[97:98] offset:1056
.LBB0_9:
	s_or_b64 exec, exec, s[4:5]
	s_waitcnt lgkmcnt(0)
	s_barrier
	s_and_saveexec_b64 s[4:5], vcc
	s_cbranch_execz .LBB0_11
; %bb.10:
	ds_read2_b64 v[24:27], v51 offset1:11
	ds_read2_b64 v[28:31], v51 offset0:22 offset1:33
	ds_read2_b64 v[36:39], v51 offset0:44 offset1:55
	ds_read2_b64 v[40:43], v51 offset0:66 offset1:77
	ds_read2_b64 v[32:35], v51 offset0:88 offset1:99
	ds_read2_b64 v[0:3], v51 offset0:110 offset1:121
	ds_read_b64 v[45:46], v51 offset:1056
.LBB0_11:
	s_or_b64 exec, exec, s[4:5]
	s_waitcnt lgkmcnt(0)
	s_barrier
	s_and_saveexec_b64 s[4:5], vcc
	s_cbranch_execz .LBB0_13
; %bb.12:
	v_add_f32_e32 v63, v46, v27
	v_mul_f32_e32 v65, 0xbf788fa5, v63
	v_add_f32_e32 v64, v3, v29
	v_sub_f32_e32 v66, v26, v45
	v_mov_b32_e32 v53, v65
	v_mul_f32_e32 v67, 0x3f62ad3f, v64
	v_fmac_f32_e32 v53, 0x3e750f2a, v66
	v_sub_f32_e32 v68, v28, v2
	v_mov_b32_e32 v54, v67
	v_add_f32_e32 v69, v1, v31
	v_add_f32_e32 v53, v25, v53
	v_fmac_f32_e32 v54, 0xbeedf032, v68
	v_mul_f32_e32 v70, 0xbf3f9e67, v69
	v_add_f32_e32 v53, v54, v53
	v_sub_f32_e32 v71, v30, v0
	v_mov_b32_e32 v54, v70
	v_add_f32_e32 v72, v35, v37
	v_fmac_f32_e32 v54, 0x3f29c268, v71
	v_mul_f32_e32 v73, 0x3f116cb1, v72
	v_add_f32_e32 v53, v54, v53
	v_sub_f32_e32 v74, v36, v34
	v_mov_b32_e32 v54, v73
	v_add_f32_e32 v75, v33, v39
	v_fmac_f32_e32 v54, 0xbf52af12, v74
	v_mul_f32_e32 v76, 0xbeb58ec6, v75
	v_add_f32_e32 v53, v54, v53
	v_sub_f32_e32 v77, v38, v32
	v_mov_b32_e32 v54, v76
	v_add_f32_e32 v78, v43, v41
	v_fmac_f32_e32 v54, 0x3f6f5d39, v77
	v_mul_f32_e32 v79, 0x3df6dbef, v78
	v_add_f32_e32 v53, v54, v53
	v_sub_f32_e32 v80, v40, v42
	v_mov_b32_e32 v54, v79
	v_sub_f32_e32 v82, v27, v46
	v_fmac_f32_e32 v54, 0xbf7e222b, v80
	v_mul_f32_e32 v83, 0xbe750f2a, v82
	v_sub_f32_e32 v85, v29, v3
	v_add_f32_e32 v54, v54, v53
	v_add_f32_e32 v81, v45, v26
	v_mov_b32_e32 v53, v83
	v_mul_f32_e32 v86, 0x3eedf032, v85
	v_fmac_f32_e32 v53, 0xbf788fa5, v81
	v_add_f32_e32 v84, v2, v28
	v_mov_b32_e32 v55, v86
	v_sub_f32_e32 v88, v31, v1
	v_add_f32_e32 v53, v24, v53
	v_fmac_f32_e32 v55, 0x3f62ad3f, v84
	v_mul_f32_e32 v89, 0xbf29c268, v88
	v_add_f32_e32 v53, v55, v53
	v_add_f32_e32 v87, v0, v30
	v_mov_b32_e32 v55, v89
	v_sub_f32_e32 v91, v37, v35
	v_fmac_f32_e32 v55, 0xbf3f9e67, v87
	v_mul_f32_e32 v92, 0x3f52af12, v91
	v_add_f32_e32 v53, v55, v53
	v_add_f32_e32 v90, v34, v36
	v_mov_b32_e32 v55, v92
	v_sub_f32_e32 v94, v39, v33
	;; [unrolled: 6-line block ×3, first 2 shown]
	v_fmac_f32_e32 v55, 0xbeb58ec6, v93
	v_mul_f32_e32 v98, 0x3f7e222b, v97
	v_add_f32_e32 v53, v55, v53
	v_add_f32_e32 v96, v42, v40
	v_mov_b32_e32 v55, v98
	v_fmac_f32_e32 v55, 0x3df6dbef, v96
	v_mul_f32_e32 v99, 0xbf3f9e67, v63
	v_add_f32_e32 v53, v55, v53
	v_mov_b32_e32 v55, v99
	v_mul_f32_e32 v100, 0x3df6dbef, v64
	v_fmac_f32_e32 v55, 0x3f29c268, v66
	v_mov_b32_e32 v56, v100
	v_add_f32_e32 v55, v25, v55
	v_fmac_f32_e32 v56, 0xbf7e222b, v68
	v_mul_f32_e32 v101, 0x3f116cb1, v69
	v_add_f32_e32 v55, v56, v55
	v_mov_b32_e32 v56, v101
	v_fmac_f32_e32 v56, 0x3f52af12, v71
	v_mul_f32_e32 v102, 0xbf788fa5, v72
	v_add_f32_e32 v55, v56, v55
	v_mov_b32_e32 v56, v102
	v_fmac_f32_e32 v56, 0xbe750f2a, v74
	v_mul_f32_e32 v103, 0x3f62ad3f, v75
	v_add_f32_e32 v55, v56, v55
	v_mov_b32_e32 v56, v103
	v_fmac_f32_e32 v56, 0xbeedf032, v77
	v_mul_f32_e32 v104, 0xbeb58ec6, v78
	v_add_f32_e32 v55, v56, v55
	v_mov_b32_e32 v56, v104
	v_fmac_f32_e32 v56, 0x3f6f5d39, v80
	v_mul_f32_e32 v105, 0xbf29c268, v82
	v_add_f32_e32 v56, v56, v55
	v_mov_b32_e32 v55, v105
	v_mul_f32_e32 v106, 0x3f7e222b, v85
	v_fmac_f32_e32 v55, 0xbf3f9e67, v81
	v_mov_b32_e32 v57, v106
	v_add_f32_e32 v55, v24, v55
	v_fmac_f32_e32 v57, 0x3df6dbef, v84
	v_mul_f32_e32 v107, 0xbf52af12, v88
	v_add_f32_e32 v55, v57, v55
	v_mov_b32_e32 v57, v107
	v_fmac_f32_e32 v57, 0x3f116cb1, v87
	v_mul_f32_e32 v108, 0x3e750f2a, v91
	v_add_f32_e32 v55, v57, v55
	v_mov_b32_e32 v57, v108
	v_fmac_f32_e32 v57, 0xbf788fa5, v90
	v_mul_f32_e32 v109, 0x3eedf032, v94
	v_add_f32_e32 v55, v57, v55
	v_mov_b32_e32 v57, v109
	v_fmac_f32_e32 v57, 0x3f62ad3f, v93
	v_mul_f32_e32 v110, 0xbf6f5d39, v97
	v_add_f32_e32 v55, v57, v55
	v_mov_b32_e32 v57, v110
	v_fmac_f32_e32 v57, 0xbeb58ec6, v96
	v_mul_f32_e32 v111, 0xbeb58ec6, v63
	v_add_f32_e32 v55, v57, v55
	v_mov_b32_e32 v57, v111
	v_mul_f32_e32 v112, 0xbf3f9e67, v64
	v_fmac_f32_e32 v57, 0x3f6f5d39, v66
	v_mov_b32_e32 v58, v112
	v_add_f32_e32 v57, v25, v57
	v_fmac_f32_e32 v58, 0xbf29c268, v68
	v_mul_f32_e32 v113, 0x3f62ad3f, v69
	v_add_f32_e32 v57, v58, v57
	v_mov_b32_e32 v58, v113
	v_fmac_f32_e32 v58, 0xbeedf032, v71
	v_mul_f32_e32 v114, 0x3df6dbef, v72
	v_add_f32_e32 v57, v58, v57
	v_mov_b32_e32 v58, v114
	v_fmac_f32_e32 v58, 0x3f7e222b, v74
	v_mul_f32_e32 v115, 0xbf788fa5, v75
	v_add_f32_e32 v57, v58, v57
	v_mov_b32_e32 v58, v115
	v_fmac_f32_e32 v58, 0xbe750f2a, v77
	v_mul_f32_e32 v116, 0x3f116cb1, v78
	v_add_f32_e32 v57, v58, v57
	v_mov_b32_e32 v58, v116
	v_fmac_f32_e32 v58, 0xbf52af12, v80
	v_mul_f32_e32 v117, 0xbf6f5d39, v82
	v_add_f32_e32 v58, v58, v57
	v_mov_b32_e32 v57, v117
	v_mul_f32_e32 v118, 0x3f29c268, v85
	v_fmac_f32_e32 v57, 0xbeb58ec6, v81
	v_mov_b32_e32 v59, v118
	v_add_f32_e32 v27, v27, v25
	v_add_f32_e32 v57, v24, v57
	v_fmac_f32_e32 v59, 0xbf3f9e67, v84
	v_mul_f32_e32 v119, 0x3eedf032, v88
	v_add_f32_e32 v27, v29, v27
	v_add_f32_e32 v57, v59, v57
	v_mov_b32_e32 v59, v119
	v_add_f32_e32 v27, v31, v27
	v_fmac_f32_e32 v59, 0x3f62ad3f, v87
	v_mul_f32_e32 v120, 0xbf7e222b, v91
	v_add_f32_e32 v27, v37, v27
	v_add_f32_e32 v57, v59, v57
	v_mov_b32_e32 v59, v120
	;; [unrolled: 6-line block ×5, first 2 shown]
	v_mul_f32_e32 v124, 0xbf788fa5, v64
	v_add_f32_e32 v1, v3, v1
	v_add_f32_e32 v3, v26, v24
	v_fmac_f32_e32 v59, 0x3f7e222b, v66
	v_mov_b32_e32 v60, v124
	v_add_f32_e32 v3, v28, v3
	v_add_f32_e32 v59, v25, v59
	v_fmac_f32_e32 v60, 0x3e750f2a, v68
	v_mul_f32_e32 v125, 0xbeb58ec6, v69
	v_add_f32_e32 v3, v30, v3
	v_add_f32_e32 v59, v60, v59
	v_mov_b32_e32 v60, v125
	v_add_f32_e32 v3, v36, v3
	v_fmac_f32_e32 v60, 0xbf6f5d39, v71
	v_mul_f32_e32 v126, 0x3f62ad3f, v72
	v_add_f32_e32 v3, v38, v3
	v_add_f32_e32 v59, v60, v59
	v_mov_b32_e32 v60, v126
	v_add_f32_e32 v3, v40, v3
	v_fmac_f32_e32 v60, 0xbeedf032, v74
	v_mul_f32_e32 v127, 0x3f116cb1, v75
	v_add_f32_e32 v3, v42, v3
	v_add_f32_e32 v59, v60, v59
	v_mov_b32_e32 v60, v127
	v_add_f32_e32 v3, v32, v3
	v_fmac_f32_e32 v60, 0x3f52af12, v77
	v_mul_f32_e32 v128, 0xbf3f9e67, v78
	v_add_f32_e32 v3, v34, v3
	v_add_f32_e32 v59, v60, v59
	v_mov_b32_e32 v60, v128
	v_add_f32_e32 v0, v0, v3
	v_fmac_f32_e32 v65, 0xbe750f2a, v66
	v_fmac_f32_e32 v60, 0x3f29c268, v80
	v_mul_f32_e32 v129, 0xbf7e222b, v82
	v_add_f32_e32 v0, v2, v0
	v_add_f32_e32 v2, v25, v65
	v_fmac_f32_e32 v67, 0x3eedf032, v68
	v_add_f32_e32 v60, v60, v59
	v_mov_b32_e32 v59, v129
	v_mul_f32_e32 v130, 0xbe750f2a, v85
	v_add_f32_e32 v2, v67, v2
	v_fmac_f32_e32 v70, 0xbf29c268, v71
	v_fmac_f32_e32 v59, 0x3df6dbef, v81
	v_mov_b32_e32 v61, v130
	v_add_f32_e32 v2, v70, v2
	v_fmac_f32_e32 v73, 0x3f52af12, v74
	v_add_f32_e32 v59, v24, v59
	v_fmac_f32_e32 v61, 0xbf788fa5, v84
	v_mul_f32_e32 v131, 0x3f6f5d39, v88
	v_add_f32_e32 v2, v73, v2
	v_fmac_f32_e32 v76, 0xbf6f5d39, v77
	s_mov_b32 s10, 0xbf788fa5
	v_add_f32_e32 v59, v61, v59
	v_mov_b32_e32 v61, v131
	v_add_f32_e32 v2, v76, v2
	v_fmac_f32_e32 v79, 0x3f7e222b, v80
	s_mov_b32 s12, 0x3f62ad3f
	v_fmac_f32_e32 v61, 0xbeb58ec6, v87
	v_mul_f32_e32 v132, 0x3eedf032, v91
	v_add_f32_e32 v3, v79, v2
	v_fma_f32 v2, v81, s10, -v83
	s_mov_b32 s11, 0xbf3f9e67
	v_add_f32_e32 v59, v61, v59
	v_mov_b32_e32 v61, v132
	v_add_f32_e32 v2, v24, v2
	v_fma_f32 v26, v84, s12, -v86
	s_mov_b32 s13, 0x3f116cb1
	v_fmac_f32_e32 v61, 0x3f62ad3f, v90
	v_mul_f32_e32 v133, 0xbf52af12, v94
	v_add_f32_e32 v2, v26, v2
	v_fma_f32 v26, v87, s11, -v89
	s_mov_b32 s14, 0xbeb58ec6
	v_add_f32_e32 v59, v61, v59
	v_mov_b32_e32 v61, v133
	v_add_f32_e32 v2, v26, v2
	v_fma_f32 v26, v90, s13, -v92
	s_mov_b32 s15, 0x3df6dbef
	v_fmac_f32_e32 v61, 0x3f116cb1, v93
	v_mul_f32_e32 v134, 0xbf29c268, v97
	v_add_f32_e32 v2, v26, v2
	v_fma_f32 v26, v93, s14, -v95
	v_add_f32_e32 v59, v61, v59
	v_mov_b32_e32 v61, v134
	v_add_f32_e32 v2, v26, v2
	v_fma_f32 v26, v96, s15, -v98
	v_fmac_f32_e32 v99, 0xbf29c268, v66
	v_fmac_f32_e32 v61, 0xbf3f9e67, v96
	v_mul_f32_e32 v135, 0x3f116cb1, v63
	v_add_f32_e32 v2, v26, v2
	v_add_f32_e32 v26, v25, v99
	v_fmac_f32_e32 v100, 0x3f7e222b, v68
	v_add_f32_e32 v59, v61, v59
	v_mov_b32_e32 v61, v135
	v_mul_f32_e32 v136, 0xbeb58ec6, v64
	v_add_f32_e32 v26, v100, v26
	v_fmac_f32_e32 v101, 0xbf52af12, v71
	v_fmac_f32_e32 v61, 0x3f52af12, v66
	v_mov_b32_e32 v62, v136
	v_add_f32_e32 v26, v101, v26
	v_fmac_f32_e32 v102, 0x3e750f2a, v74
	v_add_f32_e32 v61, v25, v61
	v_fmac_f32_e32 v62, 0x3f6f5d39, v68
	v_mul_f32_e32 v137, 0xbf788fa5, v69
	v_add_f32_e32 v26, v102, v26
	v_fmac_f32_e32 v103, 0x3eedf032, v77
	v_add_f32_e32 v61, v62, v61
	v_mov_b32_e32 v62, v137
	v_add_f32_e32 v26, v103, v26
	v_fmac_f32_e32 v104, 0xbf6f5d39, v80
	v_fmac_f32_e32 v62, 0x3e750f2a, v71
	v_mul_f32_e32 v138, 0xbf3f9e67, v72
	v_add_f32_e32 v27, v104, v26
	v_fma_f32 v26, v81, s11, -v105
	v_add_f32_e32 v61, v62, v61
	v_mov_b32_e32 v62, v138
	v_add_f32_e32 v26, v24, v26
	v_fma_f32 v28, v84, s15, -v106
	v_fmac_f32_e32 v62, 0xbf29c268, v74
	v_mul_f32_e32 v139, 0x3df6dbef, v75
	v_add_f32_e32 v26, v28, v26
	v_fma_f32 v28, v87, s13, -v107
	v_add_f32_e32 v61, v62, v61
	v_mov_b32_e32 v62, v139
	v_add_f32_e32 v26, v28, v26
	v_fma_f32 v28, v90, s10, -v108
	;; [unrolled: 8-line block ×3, first 2 shown]
	v_fmac_f32_e32 v111, 0xbf6f5d39, v66
	v_fmac_f32_e32 v62, 0xbeedf032, v80
	v_mul_f32_e32 v141, 0xbf52af12, v82
	v_add_f32_e32 v26, v28, v26
	v_add_f32_e32 v28, v25, v111
	v_fmac_f32_e32 v112, 0x3f29c268, v68
	v_add_f32_e32 v62, v62, v61
	v_mov_b32_e32 v61, v141
	v_mul_f32_e32 v142, 0xbf6f5d39, v85
	v_add_f32_e32 v28, v112, v28
	v_fmac_f32_e32 v113, 0x3eedf032, v71
	v_fmac_f32_e32 v61, 0x3f116cb1, v81
	v_mov_b32_e32 v143, v142
	v_add_f32_e32 v28, v113, v28
	v_fmac_f32_e32 v114, 0xbf7e222b, v74
	v_add_f32_e32 v61, v24, v61
	v_fmac_f32_e32 v143, 0xbeb58ec6, v84
	;; [unrolled: 2-line block ×3, first 2 shown]
	v_add_f32_e32 v61, v143, v61
	v_mul_f32_e32 v143, 0xbe750f2a, v88
	v_add_f32_e32 v28, v115, v28
	v_fmac_f32_e32 v116, 0x3f52af12, v80
	v_mov_b32_e32 v144, v143
	v_add_f32_e32 v29, v116, v28
	v_fma_f32 v28, v81, s14, -v117
	v_fmac_f32_e32 v144, 0xbf788fa5, v87
	v_add_f32_e32 v28, v24, v28
	v_fma_f32 v30, v84, s11, -v118
	v_add_f32_e32 v61, v144, v61
	v_mul_f32_e32 v144, 0x3f29c268, v91
	v_add_f32_e32 v28, v30, v28
	v_fma_f32 v30, v87, s12, -v119
	v_mov_b32_e32 v145, v144
	v_add_f32_e32 v28, v30, v28
	v_fma_f32 v30, v90, s15, -v120
	v_fmac_f32_e32 v145, 0xbf3f9e67, v90
	v_add_f32_e32 v28, v30, v28
	v_fma_f32 v30, v93, s10, -v121
	v_add_f32_e32 v61, v145, v61
	v_mul_f32_e32 v145, 0x3f7e222b, v94
	v_add_f32_e32 v28, v30, v28
	v_fma_f32 v30, v96, s13, -v122
	v_fmac_f32_e32 v123, 0xbf7e222b, v66
	v_mov_b32_e32 v146, v145
	v_add_f32_e32 v28, v30, v28
	v_add_f32_e32 v30, v25, v123
	v_fmac_f32_e32 v124, 0xbe750f2a, v68
	v_fmac_f32_e32 v146, 0x3df6dbef, v93
	v_add_f32_e32 v30, v124, v30
	v_fmac_f32_e32 v125, 0x3f6f5d39, v71
	v_add_f32_e32 v61, v146, v61
	v_mul_f32_e32 v146, 0x3eedf032, v97
	v_add_f32_e32 v30, v125, v30
	v_fmac_f32_e32 v126, 0x3eedf032, v74
	v_mov_b32_e32 v147, v146
	v_add_f32_e32 v30, v126, v30
	v_fmac_f32_e32 v127, 0xbf52af12, v77
	v_fmac_f32_e32 v147, 0x3f62ad3f, v96
	v_add_f32_e32 v30, v127, v30
	v_fmac_f32_e32 v128, 0xbf29c268, v80
	v_add_f32_e32 v61, v147, v61
	v_mul_f32_e32 v147, 0x3f62ad3f, v63
	v_add_f32_e32 v31, v128, v30
	v_fma_f32 v30, v81, s15, -v129
	v_mov_b32_e32 v63, v147
	v_mul_f32_e32 v148, 0x3f116cb1, v64
	v_add_f32_e32 v30, v24, v30
	v_fma_f32 v32, v84, s10, -v130
	v_fmac_f32_e32 v63, 0x3eedf032, v66
	v_mov_b32_e32 v64, v148
	v_add_f32_e32 v30, v32, v30
	v_fma_f32 v32, v87, s14, -v131
	v_add_f32_e32 v63, v25, v63
	v_fmac_f32_e32 v64, 0x3f52af12, v68
	v_mul_f32_e32 v69, 0x3df6dbef, v69
	v_add_f32_e32 v30, v32, v30
	v_fma_f32 v32, v90, s12, -v132
	v_add_f32_e32 v63, v64, v63
	v_mov_b32_e32 v64, v69
	v_add_f32_e32 v30, v32, v30
	v_fma_f32 v32, v93, s13, -v133
	v_fmac_f32_e32 v64, 0x3f7e222b, v71
	v_mul_f32_e32 v72, 0xbeb58ec6, v72
	v_add_f32_e32 v30, v32, v30
	v_fma_f32 v32, v96, s11, -v134
	v_fmac_f32_e32 v135, 0xbf52af12, v66
	v_add_f32_e32 v63, v64, v63
	v_mov_b32_e32 v64, v72
	v_add_f32_e32 v30, v32, v30
	v_add_f32_e32 v32, v25, v135
	v_fmac_f32_e32 v136, 0xbf6f5d39, v68
	v_fmac_f32_e32 v64, 0x3f6f5d39, v74
	v_mul_f32_e32 v75, 0xbf3f9e67, v75
	v_add_f32_e32 v32, v136, v32
	v_fmac_f32_e32 v137, 0xbe750f2a, v71
	v_add_f32_e32 v63, v64, v63
	v_mov_b32_e32 v64, v75
	v_add_f32_e32 v32, v137, v32
	v_fmac_f32_e32 v138, 0x3f29c268, v74
	v_fmac_f32_e32 v64, 0x3f29c268, v77
	v_mul_f32_e32 v78, 0xbf788fa5, v78
	v_add_f32_e32 v32, v138, v32
	v_fmac_f32_e32 v139, 0x3f7e222b, v77
	v_add_f32_e32 v63, v64, v63
	v_mov_b32_e32 v64, v78
	v_add_f32_e32 v32, v139, v32
	v_fmac_f32_e32 v140, 0x3eedf032, v80
	v_fmac_f32_e32 v64, 0x3e750f2a, v80
	v_mul_f32_e32 v82, 0xbeedf032, v82
	v_add_f32_e32 v33, v140, v32
	v_fma_f32 v32, v81, s13, -v141
	v_add_f32_e32 v64, v64, v63
	v_mov_b32_e32 v63, v82
	v_mul_f32_e32 v85, 0xbf52af12, v85
	v_add_f32_e32 v32, v24, v32
	v_fma_f32 v34, v84, s14, -v142
	v_fmac_f32_e32 v63, 0x3f62ad3f, v81
	v_mov_b32_e32 v149, v85
	v_add_f32_e32 v32, v34, v32
	v_fma_f32 v34, v87, s10, -v143
	v_add_f32_e32 v63, v24, v63
	v_fmac_f32_e32 v149, 0x3f116cb1, v84
	v_mul_f32_e32 v88, 0xbf7e222b, v88
	v_add_f32_e32 v32, v34, v32
	v_fma_f32 v34, v90, s11, -v144
	v_add_f32_e32 v63, v149, v63
	v_mov_b32_e32 v149, v88
	v_add_f32_e32 v32, v34, v32
	v_fma_f32 v34, v93, s15, -v145
	v_fmac_f32_e32 v149, 0x3df6dbef, v87
	v_mul_f32_e32 v91, 0xbf6f5d39, v91
	v_add_f32_e32 v32, v34, v32
	v_fma_f32 v34, v96, s12, -v146
	v_add_f32_e32 v63, v149, v63
	v_mov_b32_e32 v149, v91
	v_add_f32_e32 v32, v34, v32
	v_fma_f32 v34, v81, s12, -v82
	v_fmac_f32_e32 v149, 0xbeb58ec6, v90
	v_mul_f32_e32 v94, 0xbf29c268, v94
	v_fmac_f32_e32 v147, 0xbeedf032, v66
	v_add_f32_e32 v24, v24, v34
	v_fma_f32 v34, v84, s13, -v85
	v_add_f32_e32 v63, v149, v63
	v_mov_b32_e32 v149, v94
	v_add_f32_e32 v25, v25, v147
	v_fmac_f32_e32 v148, 0xbf52af12, v68
	v_add_f32_e32 v24, v34, v24
	v_fma_f32 v34, v87, s15, -v88
	v_fmac_f32_e32 v149, 0xbf3f9e67, v93
	v_mul_f32_e32 v97, 0xbe750f2a, v97
	v_add_f32_e32 v25, v148, v25
	v_fmac_f32_e32 v69, 0xbf7e222b, v71
	v_add_f32_e32 v24, v34, v24
	v_fma_f32 v34, v90, s14, -v91
	v_add_f32_e32 v63, v149, v63
	v_mov_b32_e32 v149, v97
	v_add_f32_e32 v25, v69, v25
	v_fmac_f32_e32 v72, 0xbf6f5d39, v74
	v_add_f32_e32 v24, v34, v24
	v_fma_f32 v34, v93, s11, -v94
	v_fmac_f32_e32 v149, 0xbf788fa5, v96
	v_add_f32_e32 v25, v72, v25
	v_fmac_f32_e32 v75, 0xbf29c268, v77
	v_add_f32_e32 v24, v34, v24
	v_fma_f32 v34, v96, s10, -v97
	v_add_f32_e32 v63, v149, v63
	v_add_f32_e32 v1, v46, v1
	;; [unrolled: 1-line block ×4, first 2 shown]
	v_fmac_f32_e32 v78, 0xbe750f2a, v80
	v_add_f32_e32 v24, v34, v24
	v_lshl_add_u32 v34, v50, 3, v49
	v_add_f32_e32 v25, v78, v25
	ds_write2_b64 v34, v[0:1], v[63:64] offset1:1
	ds_write2_b64 v34, v[61:62], v[59:60] offset0:2 offset1:3
	ds_write2_b64 v34, v[57:58], v[55:56] offset0:4 offset1:5
	;; [unrolled: 1-line block ×5, first 2 shown]
	ds_write_b64 v34, v[24:25] offset:96
.LBB0_13:
	s_or_b64 exec, exec, s[4:5]
	s_waitcnt lgkmcnt(0)
	s_barrier
	ds_read2_b64 v[0:3], v52 offset1:13
	ds_read2_b64 v[24:27], v52 offset0:26 offset1:39
	ds_read2_b64 v[28:31], v52 offset0:52 offset1:65
	;; [unrolled: 1-line block ×4, first 2 shown]
	ds_read_b64 v[40:41], v52 offset:1040
	s_waitcnt lgkmcnt(5)
	v_mul_f32_e32 v42, v17, v3
	v_fmac_f32_e32 v42, v16, v2
	v_mul_f32_e32 v2, v17, v2
	v_fma_f32 v16, v16, v3, -v2
	s_waitcnt lgkmcnt(4)
	v_mul_f32_e32 v17, v19, v25
	v_mul_f32_e32 v2, v19, v24
	v_fmac_f32_e32 v17, v18, v24
	v_fma_f32 v18, v18, v25, -v2
	v_mul_f32_e32 v19, v13, v27
	v_mul_f32_e32 v2, v13, v26
	v_fmac_f32_e32 v19, v12, v26
	v_fma_f32 v12, v12, v27, -v2
	s_waitcnt lgkmcnt(3)
	v_mul_f32_e32 v13, v15, v29
	v_mul_f32_e32 v2, v15, v28
	v_fmac_f32_e32 v13, v14, v28
	v_fma_f32 v14, v14, v29, -v2
	v_mul_f32_e32 v15, v9, v31
	v_mul_f32_e32 v2, v9, v30
	v_fmac_f32_e32 v15, v8, v30
	;; [unrolled: 9-line block ×3, first 2 shown]
	v_fma_f32 v4, v4, v35, -v2
	s_waitcnt lgkmcnt(1)
	v_mul_f32_e32 v5, v7, v37
	v_mul_f32_e32 v2, v7, v36
	v_fmac_f32_e32 v5, v6, v36
	v_fma_f32 v6, v6, v37, -v2
	v_mul_f32_e32 v7, v21, v39
	v_mul_f32_e32 v2, v21, v38
	v_add_f32_e32 v3, v1, v16
	v_fmac_f32_e32 v7, v20, v38
	v_fma_f32 v20, v20, v39, -v2
	s_waitcnt lgkmcnt(0)
	v_mul_f32_e32 v21, v23, v41
	v_mul_f32_e32 v2, v23, v40
	v_add_f32_e32 v3, v3, v18
	v_fmac_f32_e32 v21, v22, v40
	v_fma_f32 v22, v22, v41, -v2
	v_add_f32_e32 v2, v0, v42
	v_add_f32_e32 v3, v3, v12
	;; [unrolled: 1-line block ×15, first 2 shown]
	v_sub_f32_e32 v16, v16, v22
	v_add_f32_e32 v2, v2, v5
	v_add_f32_e32 v3, v3, v22
	v_mul_f32_e32 v22, 0xbf0a6770, v16
	v_mul_f32_e32 v28, 0xbf68dda4, v16
	;; [unrolled: 1-line block ×5, first 2 shown]
	v_add_f32_e32 v2, v2, v7
	v_add_f32_e32 v23, v42, v21
	s_mov_b32 s10, 0x3f575c64
	v_mov_b32_e32 v25, v22
	v_mul_f32_e32 v26, 0x3f575c64, v24
	s_mov_b32 s4, 0x3ed4b147
	v_mov_b32_e32 v29, v28
	v_mul_f32_e32 v30, 0x3ed4b147, v24
	;; [unrolled: 3-line block ×5, first 2 shown]
	v_add_f32_e32 v2, v2, v21
	v_sub_f32_e32 v21, v42, v21
	v_fmac_f32_e32 v25, 0x3f575c64, v23
	v_mov_b32_e32 v27, v26
	v_fma_f32 v22, v23, s10, -v22
	v_fmac_f32_e32 v29, 0x3ed4b147, v23
	v_mov_b32_e32 v31, v30
	v_fma_f32 v28, v23, s4, -v28
	;; [unrolled: 3-line block ×5, first 2 shown]
	v_add_f32_e32 v25, v0, v25
	v_fmac_f32_e32 v27, 0x3f0a6770, v21
	v_add_f32_e32 v22, v0, v22
	v_fmac_f32_e32 v26, 0xbf0a6770, v21
	;; [unrolled: 2-line block ×10, first 2 shown]
	v_add_f32_e32 v16, v17, v7
	v_add_f32_e32 v21, v18, v20
	v_sub_f32_e32 v7, v17, v7
	v_sub_f32_e32 v17, v18, v20
	v_mul_f32_e32 v18, 0xbf68dda4, v17
	v_mul_f32_e32 v23, 0x3ed4b147, v21
	v_add_f32_e32 v27, v1, v27
	v_add_f32_e32 v26, v1, v26
	;; [unrolled: 1-line block ×10, first 2 shown]
	v_mov_b32_e32 v20, v18
	v_mov_b32_e32 v24, v23
	v_fma_f32 v18, v16, s4, -v18
	v_fmac_f32_e32 v23, 0xbf68dda4, v7
	v_fmac_f32_e32 v20, 0x3ed4b147, v16
	v_add_f32_e32 v18, v18, v22
	v_add_f32_e32 v22, v23, v26
	v_mul_f32_e32 v23, 0xbf4178ce, v17
	v_add_f32_e32 v20, v20, v25
	v_mov_b32_e32 v25, v23
	v_fma_f32 v23, v16, s11, -v23
	v_fmac_f32_e32 v25, 0xbf27a4f4, v16
	v_add_f32_e32 v23, v23, v28
	v_mul_f32_e32 v28, 0x3e903f40, v17
	v_add_f32_e32 v25, v25, v29
	v_mov_b32_e32 v29, v28
	v_fma_f32 v28, v16, s12, -v28
	v_fmac_f32_e32 v24, 0x3f68dda4, v7
	v_mul_f32_e32 v26, 0xbf27a4f4, v21
	v_fmac_f32_e32 v29, 0xbf75a155, v16
	v_add_f32_e32 v28, v28, v32
	v_mul_f32_e32 v32, 0x3f7d64f0, v17
	v_add_f32_e32 v24, v24, v27
	v_mov_b32_e32 v27, v26
	v_fmac_f32_e32 v26, 0xbf4178ce, v7
	v_add_f32_e32 v29, v29, v33
	v_mov_b32_e32 v33, v32
	v_fma_f32 v32, v16, s5, -v32
	v_mul_f32_e32 v17, 0x3f0a6770, v17
	v_fmac_f32_e32 v27, 0x3f4178ce, v7
	v_add_f32_e32 v26, v26, v30
	v_mul_f32_e32 v30, 0xbf75a155, v21
	v_add_f32_e32 v32, v32, v36
	v_mov_b32_e32 v36, v17
	v_add_f32_e32 v27, v27, v31
	v_mov_b32_e32 v31, v30
	v_fmac_f32_e32 v30, 0x3e903f40, v7
	v_fmac_f32_e32 v33, 0xbe11bafb, v16
	;; [unrolled: 1-line block ×3, first 2 shown]
	v_fma_f32 v16, v16, s10, -v17
	v_fmac_f32_e32 v31, 0xbe903f40, v7
	v_add_f32_e32 v30, v30, v34
	v_mul_f32_e32 v34, 0xbe11bafb, v21
	v_mul_f32_e32 v21, 0x3f575c64, v21
	v_add_f32_e32 v0, v16, v0
	v_add_f32_e32 v16, v12, v6
	v_sub_f32_e32 v6, v12, v6
	v_add_f32_e32 v31, v31, v35
	v_add_f32_e32 v33, v33, v37
	v_mov_b32_e32 v35, v34
	v_mov_b32_e32 v37, v21
	v_mul_f32_e32 v12, 0xbf7d64f0, v6
	v_fmac_f32_e32 v35, 0xbf7d64f0, v7
	v_fmac_f32_e32 v34, 0x3f7d64f0, v7
	;; [unrolled: 1-line block ×4, first 2 shown]
	v_add_f32_e32 v7, v19, v5
	v_mov_b32_e32 v17, v12
	v_sub_f32_e32 v5, v19, v5
	v_fmac_f32_e32 v17, 0xbe11bafb, v7
	v_mul_f32_e32 v19, 0xbe11bafb, v16
	v_add_f32_e32 v17, v17, v20
	v_mov_b32_e32 v20, v19
	v_fma_f32 v12, v7, s5, -v12
	v_fmac_f32_e32 v19, 0xbf7d64f0, v5
	v_add_f32_e32 v12, v12, v18
	v_add_f32_e32 v18, v19, v22
	v_mul_f32_e32 v19, 0x3e903f40, v6
	v_add_f32_e32 v1, v21, v1
	v_mov_b32_e32 v21, v19
	v_fma_f32 v19, v7, s12, -v19
	v_fmac_f32_e32 v20, 0x3f7d64f0, v5
	v_fmac_f32_e32 v21, 0xbf75a155, v7
	v_mul_f32_e32 v22, 0xbf75a155, v16
	v_add_f32_e32 v19, v19, v23
	v_mul_f32_e32 v23, 0x3f68dda4, v6
	v_add_f32_e32 v20, v20, v24
	v_add_f32_e32 v21, v21, v25
	v_mov_b32_e32 v24, v22
	v_fmac_f32_e32 v22, 0x3e903f40, v5
	v_mov_b32_e32 v25, v23
	v_fma_f32 v23, v7, s4, -v23
	v_fmac_f32_e32 v24, 0xbe903f40, v5
	v_add_f32_e32 v22, v22, v26
	v_fmac_f32_e32 v25, 0x3ed4b147, v7
	v_mul_f32_e32 v26, 0x3ed4b147, v16
	v_add_f32_e32 v23, v23, v28
	v_mul_f32_e32 v28, 0xbf0a6770, v6
	v_add_f32_e32 v24, v24, v27
	v_add_f32_e32 v25, v25, v29
	v_mov_b32_e32 v27, v26
	v_fmac_f32_e32 v26, 0x3f68dda4, v5
	v_mov_b32_e32 v29, v28
	v_fma_f32 v28, v7, s10, -v28
	v_mul_f32_e32 v6, 0xbf4178ce, v6
	v_fmac_f32_e32 v27, 0xbf68dda4, v5
	v_add_f32_e32 v26, v26, v30
	v_fmac_f32_e32 v29, 0x3f575c64, v7
	v_mul_f32_e32 v30, 0x3f575c64, v16
	v_add_f32_e32 v28, v28, v32
	v_mov_b32_e32 v32, v6
	v_mul_f32_e32 v16, 0xbf27a4f4, v16
	v_fma_f32 v6, v7, s11, -v6
	v_add_f32_e32 v27, v27, v31
	v_add_f32_e32 v29, v29, v33
	v_mov_b32_e32 v31, v30
	v_mov_b32_e32 v33, v16
	v_add_f32_e32 v0, v6, v0
	v_add_f32_e32 v6, v14, v4
	v_sub_f32_e32 v4, v14, v4
	v_fmac_f32_e32 v31, 0x3f0a6770, v5
	v_fmac_f32_e32 v30, 0xbf0a6770, v5
	;; [unrolled: 1-line block ×5, first 2 shown]
	v_add_f32_e32 v5, v13, v11
	v_sub_f32_e32 v7, v13, v11
	v_mul_f32_e32 v11, 0xbf4178ce, v4
	v_mul_f32_e32 v14, 0xbf27a4f4, v6
	v_add_f32_e32 v1, v16, v1
	v_mov_b32_e32 v13, v11
	v_mov_b32_e32 v16, v14
	v_fma_f32 v11, v5, s11, -v11
	v_fmac_f32_e32 v14, 0xbf4178ce, v7
	v_fmac_f32_e32 v13, 0xbf27a4f4, v5
	v_add_f32_e32 v11, v11, v12
	v_add_f32_e32 v12, v14, v18
	v_mul_f32_e32 v14, 0x3f7d64f0, v4
	v_add_f32_e32 v13, v13, v17
	v_mov_b32_e32 v17, v14
	v_fma_f32 v14, v5, s5, -v14
	v_fmac_f32_e32 v16, 0x3f4178ce, v7
	v_fmac_f32_e32 v17, 0xbe11bafb, v5
	v_mul_f32_e32 v18, 0xbe11bafb, v6
	v_add_f32_e32 v14, v14, v19
	v_mul_f32_e32 v19, 0xbf0a6770, v4
	v_add_f32_e32 v16, v16, v20
	v_add_f32_e32 v17, v17, v21
	v_mov_b32_e32 v20, v18
	v_fmac_f32_e32 v18, 0x3f7d64f0, v7
	v_mov_b32_e32 v21, v19
	v_fma_f32 v19, v5, s10, -v19
	v_fmac_f32_e32 v20, 0xbf7d64f0, v7
	v_add_f32_e32 v18, v18, v22
	v_fmac_f32_e32 v21, 0x3f575c64, v5
	v_mul_f32_e32 v22, 0x3f575c64, v6
	v_add_f32_e32 v19, v19, v23
	v_mul_f32_e32 v23, 0xbe903f40, v4
	v_add_f32_e32 v20, v20, v24
	v_add_f32_e32 v21, v21, v25
	v_mov_b32_e32 v24, v22
	v_fmac_f32_e32 v22, 0xbf0a6770, v7
	v_mov_b32_e32 v25, v23
	v_add_f32_e32 v22, v22, v26
	v_fmac_f32_e32 v25, 0xbf75a155, v5
	v_mul_f32_e32 v26, 0xbf75a155, v6
	v_mul_f32_e32 v6, 0x3ed4b147, v6
	v_add_f32_e32 v37, v37, v41
	v_add_f32_e32 v25, v25, v29
	v_mov_b32_e32 v29, v6
	v_add_f32_e32 v33, v33, v37
	v_fmac_f32_e32 v24, 0x3f0a6770, v7
	v_fma_f32 v23, v5, s12, -v23
	v_mul_f32_e32 v4, 0x3f68dda4, v4
	v_fmac_f32_e32 v29, 0xbf68dda4, v7
	v_add_f32_e32 v35, v35, v39
	v_add_f32_e32 v34, v34, v38
	v_add_f32_e32 v24, v24, v27
	v_mov_b32_e32 v27, v26
	v_add_f32_e32 v23, v23, v28
	v_mov_b32_e32 v28, v4
	v_add_f32_e32 v29, v29, v33
	v_add_f32_e32 v33, v8, v10
	v_add_f32_e32 v36, v36, v40
	v_add_f32_e32 v31, v31, v35
	v_add_f32_e32 v30, v30, v34
	v_fmac_f32_e32 v27, 0x3e903f40, v7
	v_fmac_f32_e32 v28, 0x3ed4b147, v5
	v_fma_f32 v4, v5, s4, -v4
	v_fmac_f32_e32 v6, 0x3f68dda4, v7
	v_sub_f32_e32 v34, v15, v9
	v_mul_f32_e32 v5, 0xbf75a155, v33
	v_add_f32_e32 v32, v32, v36
	v_add_f32_e32 v27, v27, v31
	v_fmac_f32_e32 v26, 0xbe903f40, v7
	v_add_f32_e32 v31, v6, v1
	v_sub_f32_e32 v35, v8, v10
	v_mov_b32_e32 v1, v5
	v_fmac_f32_e32 v5, 0xbe903f40, v34
	v_add_f32_e32 v26, v26, v30
	v_add_f32_e32 v28, v28, v32
	;; [unrolled: 1-line block ×4, first 2 shown]
	v_mul_f32_e32 v4, 0xbe903f40, v35
	v_add_f32_e32 v5, v5, v12
	v_mul_f32_e32 v8, 0x3f0a6770, v35
	v_mul_f32_e32 v9, 0x3f575c64, v33
	;; [unrolled: 1-line block ×3, first 2 shown]
	v_mov_b32_e32 v0, v4
	v_mov_b32_e32 v6, v8
	;; [unrolled: 1-line block ×4, first 2 shown]
	v_fmac_f32_e32 v0, 0xbf75a155, v32
	v_fmac_f32_e32 v1, 0x3e903f40, v34
	;; [unrolled: 1-line block ×5, first 2 shown]
	v_add_f32_e32 v0, v0, v13
	v_add_f32_e32 v1, v1, v16
	v_fma_f32 v4, v32, s12, -v4
	v_add_f32_e32 v6, v6, v17
	v_add_f32_e32 v7, v7, v20
	v_fma_f32 v8, v32, s10, -v8
	v_fmac_f32_e32 v9, 0x3f0a6770, v34
	v_add_f32_e32 v10, v10, v21
	v_mul_f32_e32 v13, 0xbf27a4f4, v33
	v_fma_f32 v12, v32, s11, -v12
	v_mul_f32_e32 v16, 0x3f68dda4, v35
	v_mul_f32_e32 v17, 0x3ed4b147, v33
	;; [unrolled: 1-line block ×4, first 2 shown]
	v_add_f32_e32 v4, v4, v11
	v_add_f32_e32 v8, v8, v14
	;; [unrolled: 1-line block ×3, first 2 shown]
	v_mov_b32_e32 v11, v13
	v_add_f32_e32 v12, v12, v19
	v_mov_b32_e32 v14, v16
	v_mov_b32_e32 v15, v17
	;; [unrolled: 1-line block ×4, first 2 shown]
	v_fmac_f32_e32 v11, 0x3f4178ce, v34
	v_fmac_f32_e32 v13, 0xbf4178ce, v34
	;; [unrolled: 1-line block ×4, first 2 shown]
	v_fma_f32 v16, v32, s4, -v16
	v_fmac_f32_e32 v17, 0x3f68dda4, v34
	v_fmac_f32_e32 v18, 0xbe11bafb, v32
	;; [unrolled: 1-line block ×3, first 2 shown]
	v_fma_f32 v20, v32, s5, -v20
	v_fmac_f32_e32 v21, 0xbf7d64f0, v34
	v_add_f32_e32 v11, v11, v24
	v_add_f32_e32 v13, v13, v22
	;; [unrolled: 1-line block ×10, first 2 shown]
	ds_write2_b64 v51, v[2:3], v[0:1] offset1:13
	ds_write2_b64 v51, v[6:7], v[10:11] offset0:26 offset1:39
	ds_write2_b64 v51, v[14:15], v[18:19] offset0:52 offset1:65
	;; [unrolled: 1-line block ×4, first 2 shown]
	ds_write_b64 v51, v[4:5] offset:1040
	s_waitcnt lgkmcnt(0)
	s_barrier
	s_and_b64 exec, exec, vcc
	s_cbranch_execz .LBB0_15
; %bb.14:
	global_load_dwordx2 v[8:9], v47, s[6:7]
	global_load_dwordx2 v[10:11], v47, s[6:7] offset:88
	global_load_dwordx2 v[12:13], v47, s[6:7] offset:176
	;; [unrolled: 1-line block ×4, first 2 shown]
	ds_read_b64 v[20:21], v51
	ds_read2_b64 v[0:3], v51 offset0:11 offset1:22
	ds_read2_b64 v[4:7], v51 offset0:33 offset1:44
	global_load_dwordx2 v[24:25], v47, s[6:7] offset:440
	global_load_dwordx2 v[26:27], v47, s[6:7] offset:528
	;; [unrolled: 1-line block ×5, first 2 shown]
	v_mad_u64_u32 v[18:19], s[4:5], s2, v44, 0
	v_mad_u64_u32 v[22:23], s[10:11], s0, v48, 0
	s_waitcnt lgkmcnt(2)
	v_mad_u64_u32 v[34:35], s[10:11], s3, v44, v[19:20]
	v_mov_b32_e32 v37, s9
	s_mul_i32 s2, s1, 0x58
	v_mov_b32_e32 v19, v34
	v_lshlrev_b64 v[18:19], 3, v[18:19]
	s_mul_hi_u32 s9, s0, 0x58
	v_add_co_u32_e32 v18, vcc, s8, v18
	v_addc_co_u32_e32 v19, vcc, v37, v19, vcc
	s_mulk_i32 s0, 0x58
	s_add_i32 s2, s9, s2
	v_mov_b32_e32 v38, s2
	s_mov_b32 s4, 0x55ee191
	s_mov_b32 s5, 0x3f7ca4b3
	v_mov_b32_e32 v39, s2
	s_waitcnt vmcnt(8) lgkmcnt(1)
	v_mul_f32_e32 v37, v1, v11
	v_mul_f32_e32 v11, v0, v11
	s_waitcnt vmcnt(6) lgkmcnt(0)
	v_mul_f32_e32 v40, v5, v15
	s_waitcnt vmcnt(4)
	v_mad_u64_u32 v[35:36], s[10:11], s1, v48, v[23:24]
	v_mov_b32_e32 v36, s2
	v_mul_f32_e32 v15, v4, v15
	v_mov_b32_e32 v23, v35
	v_lshlrev_b64 v[22:23], 3, v[22:23]
	v_fmac_f32_e32 v37, v0, v10
	v_add_co_u32_e32 v18, vcc, v18, v22
	v_addc_co_u32_e32 v19, vcc, v19, v23, vcc
	v_add_co_u32_e32 v22, vcc, s0, v18
	v_addc_co_u32_e32 v23, vcc, v19, v38, vcc
	;; [unrolled: 2-line block ×3, first 2 shown]
	v_mul_f32_e32 v36, v21, v9
	v_mul_f32_e32 v9, v20, v9
	;; [unrolled: 1-line block ×4, first 2 shown]
	v_fmac_f32_e32 v36, v20, v8
	v_fma_f32 v8, v8, v21, -v9
	v_fma_f32 v9, v10, v1, -v11
	v_fmac_f32_e32 v38, v2, v12
	v_fma_f32 v12, v12, v3, -v13
	v_cvt_f64_f32_e32 v[0:1], v36
	v_cvt_f64_f32_e32 v[2:3], v8
	v_fmac_f32_e32 v40, v4, v14
	v_fma_f32 v20, v14, v5, -v15
	v_cvt_f64_f32_e32 v[4:5], v37
	v_cvt_f64_f32_e32 v[8:9], v9
	;; [unrolled: 1-line block ×4, first 2 shown]
	v_mul_f64 v[0:1], v[0:1], s[4:5]
	v_mul_f64 v[2:3], v[2:3], s[4:5]
	;; [unrolled: 1-line block ×6, first 2 shown]
	v_mul_f32_e32 v41, v7, v17
	v_fmac_f32_e32 v41, v6, v16
	v_cvt_f64_f32_e32 v[14:15], v40
	v_cvt_f64_f32_e32 v[20:21], v20
	;; [unrolled: 1-line block ×3, first 2 shown]
	v_cvt_f32_f64_e32 v0, v[0:1]
	v_cvt_f32_f64_e32 v1, v[2:3]
	;; [unrolled: 1-line block ×6, first 2 shown]
	v_mul_f64 v[14:15], v[14:15], s[4:5]
	v_mul_f64 v[20:21], v[20:21], s[4:5]
	global_store_dwordx2 v[18:19], v[0:1], off
	global_store_dwordx2 v[22:23], v[2:3], off
	;; [unrolled: 1-line block ×3, first 2 shown]
	v_mul_f64 v[4:5], v[36:37], s[4:5]
	v_mul_f32_e32 v0, v6, v17
	v_fma_f32 v0, v16, v7, -v0
	v_cvt_f64_f32_e32 v[6:7], v0
	ds_read2_b64 v[0:3], v51 offset0:55 offset1:66
	v_cvt_f32_f64_e32 v8, v[14:15]
	v_cvt_f32_f64_e32 v9, v[20:21]
	v_add_co_u32_e32 v10, vcc, s0, v34
	v_cvt_f32_f64_e32 v4, v[4:5]
	v_mul_f64 v[5:6], v[6:7], s[4:5]
	s_waitcnt lgkmcnt(0)
	v_mul_f32_e32 v7, v1, v25
	v_addc_co_u32_e32 v11, vcc, v35, v39, vcc
	v_fmac_f32_e32 v7, v0, v24
	global_store_dwordx2 v[10:11], v[8:9], off
	v_cvt_f64_f32_e32 v[7:8], v7
	global_load_dwordx2 v[12:13], v47, s[6:7] offset:880
	v_cvt_f32_f64_e32 v5, v[5:6]
	v_mov_b32_e32 v9, s2
	v_mul_f64 v[6:7], v[7:8], s[4:5]
	v_add_co_u32_e32 v8, vcc, s0, v10
	v_addc_co_u32_e32 v9, vcc, v11, v9, vcc
	global_store_dwordx2 v[8:9], v[4:5], off
	v_mul_f32_e32 v0, v0, v25
	v_fma_f32 v0, v24, v1, -v0
	v_cvt_f32_f64_e32 v4, v[6:7]
	global_load_dwordx2 v[6:7], v47, s[6:7] offset:968
	v_cvt_f64_f32_e32 v[0:1], v0
	v_mov_b32_e32 v16, s2
	v_add_co_u32_e32 v8, vcc, s0, v8
	v_mul_f64 v[0:1], v[0:1], s[4:5]
	v_addc_co_u32_e32 v9, vcc, v9, v16, vcc
	v_cvt_f32_f64_e32 v5, v[0:1]
	s_waitcnt vmcnt(10)
	v_mul_f32_e32 v0, v3, v27
	v_fmac_f32_e32 v0, v2, v26
	v_cvt_f64_f32_e32 v[10:11], v0
	v_mul_f32_e32 v0, v2, v27
	v_fma_f32 v0, v26, v3, -v0
	v_cvt_f64_f32_e32 v[14:15], v0
	ds_read2_b64 v[0:3], v51 offset0:77 offset1:88
	global_store_dwordx2 v[8:9], v[4:5], off
	v_mul_f64 v[4:5], v[10:11], s[4:5]
	v_mul_f64 v[10:11], v[14:15], s[4:5]
	v_add_co_u32_e32 v8, vcc, s0, v8
	s_waitcnt vmcnt(10) lgkmcnt(0)
	v_mul_f32_e32 v14, v1, v29
	v_fmac_f32_e32 v14, v0, v28
	v_mul_f32_e32 v0, v0, v29
	v_fma_f32 v0, v28, v1, -v0
	v_cvt_f64_f32_e32 v[0:1], v0
	v_cvt_f64_f32_e32 v[14:15], v14
	v_cvt_f32_f64_e32 v4, v[4:5]
	v_cvt_f32_f64_e32 v5, v[10:11]
	v_mul_f64 v[0:1], v[0:1], s[4:5]
	v_mul_f64 v[10:11], v[14:15], s[4:5]
	v_mov_b32_e32 v14, s2
	v_addc_co_u32_e32 v9, vcc, v9, v14, vcc
	global_store_dwordx2 v[8:9], v[4:5], off
	v_add_co_u32_e32 v8, vcc, s0, v8
	v_cvt_f32_f64_e32 v5, v[0:1]
	s_waitcnt vmcnt(10)
	v_mul_f32_e32 v0, v3, v31
	v_fmac_f32_e32 v0, v2, v30
	v_cvt_f32_f64_e32 v4, v[10:11]
	v_cvt_f64_f32_e32 v[10:11], v0
	v_mul_f32_e32 v0, v2, v31
	v_fma_f32 v0, v30, v3, -v0
	v_cvt_f64_f32_e32 v[14:15], v0
	ds_read2_b64 v[0:3], v51 offset0:99 offset1:110
	v_addc_co_u32_e32 v9, vcc, v9, v16, vcc
	global_store_dwordx2 v[8:9], v[4:5], off
	v_mul_f64 v[4:5], v[10:11], s[4:5]
	v_mul_f64 v[10:11], v[14:15], s[4:5]
	s_waitcnt vmcnt(10) lgkmcnt(0)
	v_mul_f32_e32 v14, v1, v33
	v_fmac_f32_e32 v14, v0, v32
	v_mul_f32_e32 v0, v0, v33
	v_fma_f32 v0, v32, v1, -v0
	v_cvt_f64_f32_e32 v[0:1], v0
	v_cvt_f64_f32_e32 v[14:15], v14
	v_cvt_f32_f64_e32 v4, v[4:5]
	v_cvt_f32_f64_e32 v5, v[10:11]
	v_mul_f64 v[0:1], v[0:1], s[4:5]
	v_mul_f64 v[10:11], v[14:15], s[4:5]
	v_mov_b32_e32 v14, s2
	v_add_co_u32_e32 v8, vcc, s0, v8
	v_addc_co_u32_e32 v9, vcc, v9, v14, vcc
	global_store_dwordx2 v[8:9], v[4:5], off
	v_cvt_f32_f64_e32 v5, v[0:1]
	s_waitcnt vmcnt(6)
	v_mul_f32_e32 v0, v3, v13
	v_fmac_f32_e32 v0, v2, v12
	v_cvt_f32_f64_e32 v4, v[10:11]
	v_cvt_f64_f32_e32 v[10:11], v0
	v_mul_f32_e32 v0, v2, v13
	v_fma_f32 v0, v12, v3, -v0
	v_cvt_f64_f32_e32 v[12:13], v0
	ds_read2_b64 v[0:3], v51 offset0:121 offset1:132
	v_add_co_u32_e32 v8, vcc, s0, v8
	v_addc_co_u32_e32 v9, vcc, v9, v14, vcc
	global_store_dwordx2 v[8:9], v[4:5], off
	v_mul_f64 v[4:5], v[10:11], s[4:5]
	v_mul_f64 v[10:11], v[12:13], s[4:5]
	s_waitcnt vmcnt(5) lgkmcnt(0)
	v_mul_f32_e32 v12, v1, v7
	v_fmac_f32_e32 v12, v0, v6
	v_mul_f32_e32 v0, v0, v7
	v_fma_f32 v0, v6, v1, -v0
	v_cvt_f64_f32_e32 v[12:13], v12
	v_cvt_f64_f32_e32 v[0:1], v0
	v_cvt_f32_f64_e32 v4, v[4:5]
	v_cvt_f32_f64_e32 v5, v[10:11]
	v_mul_f64 v[6:7], v[12:13], s[4:5]
	v_mul_f64 v[0:1], v[0:1], s[4:5]
	v_mov_b32_e32 v10, s2
	v_add_co_u32_e32 v8, vcc, s0, v8
	v_addc_co_u32_e32 v9, vcc, v9, v10, vcc
	global_store_dwordx2 v[8:9], v[4:5], off
	v_cvt_f32_f64_e32 v4, v[6:7]
	v_cvt_f32_f64_e32 v5, v[0:1]
	v_mov_b32_e32 v1, s2
	v_add_co_u32_e32 v0, vcc, s0, v8
	v_addc_co_u32_e32 v1, vcc, v9, v1, vcc
	global_store_dwordx2 v[0:1], v[4:5], off
	global_load_dwordx2 v[4:5], v47, s[6:7] offset:1056
	v_add_co_u32_e32 v0, vcc, s0, v0
	s_waitcnt vmcnt(0)
	v_mul_f32_e32 v6, v3, v5
	v_fmac_f32_e32 v6, v2, v4
	v_mul_f32_e32 v2, v2, v5
	v_fma_f32 v2, v4, v3, -v2
	v_cvt_f64_f32_e32 v[6:7], v6
	v_cvt_f64_f32_e32 v[2:3], v2
	v_mul_f64 v[4:5], v[6:7], s[4:5]
	v_mul_f64 v[2:3], v[2:3], s[4:5]
	v_cvt_f32_f64_e32 v4, v[4:5]
	v_cvt_f32_f64_e32 v5, v[2:3]
	v_mov_b32_e32 v2, s2
	v_addc_co_u32_e32 v1, vcc, v1, v2, vcc
	global_store_dwordx2 v[0:1], v[4:5], off
.LBB0_15:
	s_endpgm
	.section	.rodata,"a",@progbits
	.p2align	6, 0x0
	.amdhsa_kernel bluestein_single_fwd_len143_dim1_sp_op_CI_CI
		.amdhsa_group_segment_fixed_size 16016
		.amdhsa_private_segment_fixed_size 0
		.amdhsa_kernarg_size 104
		.amdhsa_user_sgpr_count 6
		.amdhsa_user_sgpr_private_segment_buffer 1
		.amdhsa_user_sgpr_dispatch_ptr 0
		.amdhsa_user_sgpr_queue_ptr 0
		.amdhsa_user_sgpr_kernarg_segment_ptr 1
		.amdhsa_user_sgpr_dispatch_id 0
		.amdhsa_user_sgpr_flat_scratch_init 0
		.amdhsa_user_sgpr_private_segment_size 0
		.amdhsa_uses_dynamic_stack 0
		.amdhsa_system_sgpr_private_segment_wavefront_offset 0
		.amdhsa_system_sgpr_workgroup_id_x 1
		.amdhsa_system_sgpr_workgroup_id_y 0
		.amdhsa_system_sgpr_workgroup_id_z 0
		.amdhsa_system_sgpr_workgroup_info 0
		.amdhsa_system_vgpr_workitem_id 0
		.amdhsa_next_free_vgpr 150
		.amdhsa_next_free_sgpr 16
		.amdhsa_reserve_vcc 1
		.amdhsa_reserve_flat_scratch 0
		.amdhsa_float_round_mode_32 0
		.amdhsa_float_round_mode_16_64 0
		.amdhsa_float_denorm_mode_32 3
		.amdhsa_float_denorm_mode_16_64 3
		.amdhsa_dx10_clamp 1
		.amdhsa_ieee_mode 1
		.amdhsa_fp16_overflow 0
		.amdhsa_exception_fp_ieee_invalid_op 0
		.amdhsa_exception_fp_denorm_src 0
		.amdhsa_exception_fp_ieee_div_zero 0
		.amdhsa_exception_fp_ieee_overflow 0
		.amdhsa_exception_fp_ieee_underflow 0
		.amdhsa_exception_fp_ieee_inexact 0
		.amdhsa_exception_int_div_zero 0
	.end_amdhsa_kernel
	.text
.Lfunc_end0:
	.size	bluestein_single_fwd_len143_dim1_sp_op_CI_CI, .Lfunc_end0-bluestein_single_fwd_len143_dim1_sp_op_CI_CI
                                        ; -- End function
	.section	.AMDGPU.csdata,"",@progbits
; Kernel info:
; codeLenInByte = 13508
; NumSgprs: 20
; NumVgprs: 150
; ScratchSize: 0
; MemoryBound: 0
; FloatMode: 240
; IeeeMode: 1
; LDSByteSize: 16016 bytes/workgroup (compile time only)
; SGPRBlocks: 2
; VGPRBlocks: 37
; NumSGPRsForWavesPerEU: 20
; NumVGPRsForWavesPerEU: 150
; Occupancy: 1
; WaveLimiterHint : 1
; COMPUTE_PGM_RSRC2:SCRATCH_EN: 0
; COMPUTE_PGM_RSRC2:USER_SGPR: 6
; COMPUTE_PGM_RSRC2:TRAP_HANDLER: 0
; COMPUTE_PGM_RSRC2:TGID_X_EN: 1
; COMPUTE_PGM_RSRC2:TGID_Y_EN: 0
; COMPUTE_PGM_RSRC2:TGID_Z_EN: 0
; COMPUTE_PGM_RSRC2:TIDIG_COMP_CNT: 0
	.type	__hip_cuid_645b09ea8d92de53,@object ; @__hip_cuid_645b09ea8d92de53
	.section	.bss,"aw",@nobits
	.globl	__hip_cuid_645b09ea8d92de53
__hip_cuid_645b09ea8d92de53:
	.byte	0                               ; 0x0
	.size	__hip_cuid_645b09ea8d92de53, 1

	.ident	"AMD clang version 19.0.0git (https://github.com/RadeonOpenCompute/llvm-project roc-6.4.0 25133 c7fe45cf4b819c5991fe208aaa96edf142730f1d)"
	.section	".note.GNU-stack","",@progbits
	.addrsig
	.addrsig_sym __hip_cuid_645b09ea8d92de53
	.amdgpu_metadata
---
amdhsa.kernels:
  - .args:
      - .actual_access:  read_only
        .address_space:  global
        .offset:         0
        .size:           8
        .value_kind:     global_buffer
      - .actual_access:  read_only
        .address_space:  global
        .offset:         8
        .size:           8
        .value_kind:     global_buffer
      - .actual_access:  read_only
        .address_space:  global
        .offset:         16
        .size:           8
        .value_kind:     global_buffer
      - .actual_access:  read_only
        .address_space:  global
        .offset:         24
        .size:           8
        .value_kind:     global_buffer
      - .actual_access:  read_only
        .address_space:  global
        .offset:         32
        .size:           8
        .value_kind:     global_buffer
      - .offset:         40
        .size:           8
        .value_kind:     by_value
      - .address_space:  global
        .offset:         48
        .size:           8
        .value_kind:     global_buffer
      - .address_space:  global
        .offset:         56
        .size:           8
        .value_kind:     global_buffer
      - .address_space:  global
        .offset:         64
        .size:           8
        .value_kind:     global_buffer
      - .address_space:  global
        .offset:         72
        .size:           8
        .value_kind:     global_buffer
      - .offset:         80
        .size:           4
        .value_kind:     by_value
      - .address_space:  global
        .offset:         88
        .size:           8
        .value_kind:     global_buffer
      - .address_space:  global
        .offset:         96
        .size:           8
        .value_kind:     global_buffer
    .group_segment_fixed_size: 16016
    .kernarg_segment_align: 8
    .kernarg_segment_size: 104
    .language:       OpenCL C
    .language_version:
      - 2
      - 0
    .max_flat_workgroup_size: 182
    .name:           bluestein_single_fwd_len143_dim1_sp_op_CI_CI
    .private_segment_fixed_size: 0
    .sgpr_count:     20
    .sgpr_spill_count: 0
    .symbol:         bluestein_single_fwd_len143_dim1_sp_op_CI_CI.kd
    .uniform_work_group_size: 1
    .uses_dynamic_stack: false
    .vgpr_count:     150
    .vgpr_spill_count: 0
    .wavefront_size: 64
amdhsa.target:   amdgcn-amd-amdhsa--gfx906
amdhsa.version:
  - 1
  - 2
...

	.end_amdgpu_metadata
